;; amdgpu-corpus repo=ROCm/rocFFT kind=compiled arch=gfx906 opt=O3
	.text
	.amdgcn_target "amdgcn-amd-amdhsa--gfx906"
	.amdhsa_code_object_version 6
	.protected	bluestein_single_back_len1156_dim1_half_op_CI_CI ; -- Begin function bluestein_single_back_len1156_dim1_half_op_CI_CI
	.globl	bluestein_single_back_len1156_dim1_half_op_CI_CI
	.p2align	8
	.type	bluestein_single_back_len1156_dim1_half_op_CI_CI,@function
bluestein_single_back_len1156_dim1_half_op_CI_CI: ; @bluestein_single_back_len1156_dim1_half_op_CI_CI
; %bb.0:
	v_mul_u32_u24_e32 v1, 0x3c4, v0
	s_load_dwordx4 s[8:11], s[4:5], 0x28
	v_lshrrev_b32_e32 v1, 16, v1
	v_mad_u64_u32 v[16:17], s[0:1], s6, 3, v[1:2]
	v_mov_b32_e32 v17, 0
	s_waitcnt lgkmcnt(0)
	v_cmp_gt_u64_e32 vcc, s[8:9], v[16:17]
	s_and_saveexec_b64 s[0:1], vcc
	s_cbranch_execz .LBB0_18
; %bb.1:
	s_load_dwordx4 s[0:3], s[4:5], 0x18
	s_load_dwordx4 s[12:15], s[4:5], 0x0
	v_mul_lo_u16_e32 v1, 0x44, v1
	v_sub_u16_e32 v53, v0, v1
	v_lshlrev_b32_e32 v59, 2, v53
	s_waitcnt lgkmcnt(0)
	s_load_dwordx4 s[16:19], s[0:1], 0x0
	v_mov_b32_e32 v8, s13
	s_mov_b32 s28, 0xb5c8
	s_mov_b32 s27, 0xbb29
	s_mov_b32 s29, 0xbbf7
	s_waitcnt lgkmcnt(0)
	v_mad_u64_u32 v[0:1], s[0:1], s18, v16, 0
	v_mad_u64_u32 v[2:3], s[0:1], s16, v53, 0
	s_mov_b32 s18, 0xba62
	s_mov_b32 s20, 0xb836
	v_mad_u64_u32 v[4:5], s[0:1], s19, v16, v[1:2]
	s_mov_b32 s19, 0xb8d2
	s_mov_b32 s21, 0xbacd
	v_mad_u64_u32 v[5:6], s[0:1], s17, v53, v[3:4]
	v_mov_b32_e32 v1, v4
	v_lshlrev_b64 v[0:1], 2, v[0:1]
	v_mov_b32_e32 v6, s11
	v_mov_b32_e32 v3, v5
	v_add_co_u32_e32 v4, vcc, s10, v0
	v_addc_co_u32_e32 v5, vcc, v6, v1, vcc
	v_lshlrev_b64 v[0:1], 2, v[2:3]
	s_mul_i32 s0, s17, 0x110
	v_add_co_u32_e32 v0, vcc, v4, v0
	s_mul_hi_u32 s17, s16, 0x110
	v_addc_co_u32_e32 v1, vcc, v5, v1, vcc
	s_add_i32 s17, s17, s0
	s_mulk_i32 s16, 0x110
	v_mov_b32_e32 v3, s17
	v_add_co_u32_e32 v2, vcc, s16, v0
	v_addc_co_u32_e32 v3, vcc, v1, v3, vcc
	global_load_dword v4, v[0:1], off
	global_load_dword v5, v[2:3], off
	global_load_dword v55, v59, s[12:13]
	global_load_dword v54, v59, s[12:13] offset:272
	v_mov_b32_e32 v1, s17
	v_add_co_u32_e32 v0, vcc, s16, v2
	v_addc_co_u32_e32 v1, vcc, v3, v1, vcc
	global_load_dword v2, v[0:1], off
	global_load_dword v52, v59, s[12:13] offset:544
	v_mov_b32_e32 v3, s17
	v_add_co_u32_e32 v0, vcc, s16, v0
	v_addc_co_u32_e32 v1, vcc, v1, v3, vcc
	global_load_dword v3, v[0:1], off
	global_load_dword v51, v59, s[12:13] offset:816
	s_mov_b32 s0, 0xaaaaaaab
	v_mul_hi_u32 v7, v16, s0
	v_mov_b32_e32 v6, s17
	v_add_co_u32_e32 v0, vcc, s16, v0
	v_lshrrev_b32_e32 v7, 1, v7
	v_lshl_add_u32 v7, v7, 1, v7
	v_add_co_u32_e64 v58, s[0:1], s12, v59
	v_sub_u32_e32 v7, v16, v7
	v_addc_co_u32_e32 v1, vcc, v1, v6, vcc
	v_addc_co_u32_e64 v8, vcc, 0, v8, s[0:1]
	v_mul_u32_u24_e32 v7, 0x484, v7
	global_load_dword v6, v[0:1], off
	global_load_dword v50, v59, s[12:13] offset:1088
	v_lshlrev_b32_e32 v56, 2, v7
	v_mov_b32_e32 v7, s17
	v_add_co_u32_e32 v0, vcc, s16, v0
	v_add_u32_e32 v37, v59, v56
	v_addc_co_u32_e32 v1, vcc, v1, v7, vcc
	s_load_dwordx2 s[6:7], s[4:5], 0x38
	s_load_dwordx4 s[8:11], s[2:3], 0x0
	global_load_dword v49, v59, s[12:13] offset:1360
	global_load_dword v48, v59, s[12:13] offset:1632
	;; [unrolled: 1-line block ×3, first 2 shown]
	v_mov_b32_e32 v14, s17
	v_mov_b32_e32 v15, s17
	v_mov_b32_e32 v17, s17
	s_movk_i32 s2, 0x1000
	v_add_u32_e32 v18, 0xc00, v37
	s_movk_i32 s3, 0x3b76
	s_movk_i32 s5, 0x39e9
	;; [unrolled: 1-line block ×3, first 2 shown]
	s_mov_b32 s30, 0xb964
	s_mov_b32 s22, 0x39e92de8
	;; [unrolled: 1-line block ×4, first 2 shown]
	s_movk_i32 s26, 0x3bb2
	s_mov_b32 s23, 0x3722b8d2
	s_mov_b32 s31, 0x2de8bbdd
	s_mov_b32 s33, 0xb461bacd
	s_waitcnt vmcnt(12)
	v_lshrrev_b32_e32 v9, 16, v4
	s_waitcnt vmcnt(10)
	v_mul_f16_sdwa v10, v55, v4 dst_sel:DWORD dst_unused:UNUSED_PAD src0_sel:WORD_1 src1_sel:DWORD
	v_mul_f16_sdwa v11, v55, v9 dst_sel:DWORD dst_unused:UNUSED_PAD src0_sel:WORD_1 src1_sel:DWORD
	v_fma_f16 v9, v55, v9, -v10
	v_lshrrev_b32_e32 v10, 16, v5
	s_waitcnt vmcnt(9)
	v_mul_f16_sdwa v12, v54, v5 dst_sel:DWORD dst_unused:UNUSED_PAD src0_sel:WORD_1 src1_sel:DWORD
	v_fma_f16 v4, v55, v4, v11
	v_mul_f16_sdwa v11, v54, v10 dst_sel:DWORD dst_unused:UNUSED_PAD src0_sel:WORD_1 src1_sel:DWORD
	v_fma_f16 v10, v54, v10, -v12
	s_waitcnt vmcnt(8)
	v_lshrrev_b32_e32 v12, 16, v2
	s_waitcnt vmcnt(7)
	v_mul_f16_sdwa v13, v52, v2 dst_sel:DWORD dst_unused:UNUSED_PAD src0_sel:WORD_1 src1_sel:DWORD
	v_pack_b32_f16 v4, v4, v9
	v_fma_f16 v5, v54, v5, v11
	v_mul_f16_sdwa v9, v52, v12 dst_sel:DWORD dst_unused:UNUSED_PAD src0_sel:WORD_1 src1_sel:DWORD
	v_fma_f16 v11, v52, v12, -v13
	s_waitcnt vmcnt(6)
	v_lshrrev_b32_e32 v12, 16, v3
	s_waitcnt vmcnt(5)
	v_mul_f16_sdwa v13, v51, v3 dst_sel:DWORD dst_unused:UNUSED_PAD src0_sel:WORD_1 src1_sel:DWORD
	v_fma_f16 v2, v52, v2, v9
	v_mul_f16_sdwa v9, v51, v12 dst_sel:DWORD dst_unused:UNUSED_PAD src0_sel:WORD_1 src1_sel:DWORD
	v_pack_b32_f16 v5, v5, v10
	v_fma_f16 v10, v51, v12, -v13
	v_fma_f16 v3, v51, v3, v9
	v_pack_b32_f16 v2, v2, v11
	v_pack_b32_f16 v3, v3, v10
	ds_write2_b32 v37, v4, v5 offset1:68
	ds_write2_b32 v37, v2, v3 offset0:136 offset1:204
	global_load_dword v2, v[0:1], off
	v_mov_b32_e32 v3, s17
	v_add_co_u32_e32 v0, vcc, s16, v0
	v_addc_co_u32_e32 v1, vcc, v1, v3, vcc
	global_load_dword v3, v[0:1], off
	v_mov_b32_e32 v5, s17
	v_add_co_u32_e32 v0, vcc, s16, v0
	v_addc_co_u32_e32 v1, vcc, v1, v5, vcc
	global_load_dword v5, v[0:1], off
	v_add_co_u32_e32 v0, vcc, s16, v0
	v_addc_co_u32_e32 v1, vcc, v1, v7, vcc
	global_load_dword v7, v[0:1], off
	v_mov_b32_e32 v9, s17
	v_add_co_u32_e32 v0, vcc, s16, v0
	v_addc_co_u32_e32 v1, vcc, v1, v9, vcc
	global_load_dword v9, v[0:1], off
	global_load_dword v47, v59, s[12:13] offset:2176
	global_load_dword v45, v59, s[12:13] offset:2448
	v_mov_b32_e32 v10, s17
	v_add_co_u32_e32 v0, vcc, s16, v0
	v_addc_co_u32_e32 v1, vcc, v1, v10, vcc
	global_load_dword v10, v[0:1], off
	v_mov_b32_e32 v11, s17
	v_add_co_u32_e32 v0, vcc, s16, v0
	v_addc_co_u32_e32 v1, vcc, v1, v11, vcc
	global_load_dword v11, v[0:1], off
	global_load_dword v44, v59, s[12:13] offset:2720
	global_load_dword v43, v59, s[12:13] offset:2992
	v_mov_b32_e32 v13, s17
	v_add_co_u32_e32 v0, vcc, s16, v0
	v_addc_co_u32_e32 v1, vcc, v1, v13, vcc
	global_load_dword v13, v[0:1], off
	v_add_co_u32_e32 v0, vcc, s16, v0
	v_addc_co_u32_e32 v1, vcc, v1, v14, vcc
	global_load_dword v14, v[0:1], off
	global_load_dword v42, v59, s[12:13] offset:3264
	global_load_dword v41, v59, s[12:13] offset:3536
	v_add_co_u32_e32 v0, vcc, s16, v0
	v_addc_co_u32_e32 v1, vcc, v1, v15, vcc
	global_load_dword v15, v[0:1], off
	v_add_co_u32_e32 v0, vcc, s16, v0
	v_addc_co_u32_e32 v1, vcc, v1, v17, vcc
	global_load_dword v19, v[0:1], off
	global_load_dword v40, v59, s[12:13] offset:3808
	global_load_dword v39, v59, s[12:13] offset:4080
	v_add_co_u32_e32 v0, vcc, s16, v0
	v_addc_co_u32_e32 v1, vcc, v1, v17, vcc
	global_load_dword v20, v[0:1], off
	v_add_co_u32_e32 v0, vcc, s2, v58
	v_addc_co_u32_e32 v1, vcc, 0, v8, vcc
	global_load_dword v38, v[0:1], off offset:256
	s_waitcnt vmcnt(25)
	v_lshrrev_b32_e32 v12, 16, v6
	s_waitcnt vmcnt(24)
	v_mul_f16_sdwa v4, v50, v12 dst_sel:DWORD dst_unused:UNUSED_PAD src0_sel:WORD_1 src1_sel:DWORD
	v_mul_f16_sdwa v0, v50, v6 dst_sel:DWORD dst_unused:UNUSED_PAD src0_sel:WORD_1 src1_sel:DWORD
	v_fma_f16 v4, v50, v6, v4
	v_fma_f16 v0, v50, v12, -v0
	v_pack_b32_f16 v0, v4, v0
	v_add_u32_e32 v17, 0x400, v37
	v_add_u32_e32 v12, 0x800, v37
	s_mov_b32 s2, 0x3b7639e9
	s_movk_i32 s12, 0x2de8
	s_mov_b32 s16, 0xbbb2
	s_mov_b32 s17, 0xb461
	s_waitcnt vmcnt(20)
	v_lshrrev_b32_e32 v1, 16, v2
	v_mul_f16_sdwa v4, v49, v1 dst_sel:DWORD dst_unused:UNUSED_PAD src0_sel:WORD_1 src1_sel:DWORD
	v_fma_f16 v4, v49, v2, v4
	v_mul_f16_sdwa v2, v49, v2 dst_sel:DWORD dst_unused:UNUSED_PAD src0_sel:WORD_1 src1_sel:DWORD
	v_fma_f16 v1, v49, v1, -v2
	v_pack_b32_f16 v1, v4, v1
	ds_write2_b32 v17, v0, v1 offset0:16 offset1:84
	s_waitcnt vmcnt(19)
	v_lshrrev_b32_e32 v0, 16, v3
	v_mul_f16_sdwa v1, v48, v0 dst_sel:DWORD dst_unused:UNUSED_PAD src0_sel:WORD_1 src1_sel:DWORD
	v_mul_f16_sdwa v2, v48, v3 dst_sel:DWORD dst_unused:UNUSED_PAD src0_sel:WORD_1 src1_sel:DWORD
	v_fma_f16 v1, v48, v3, v1
	v_fma_f16 v0, v48, v0, -v2
	v_pack_b32_f16 v0, v1, v0
	s_waitcnt vmcnt(18)
	v_lshrrev_b32_e32 v1, 16, v5
	v_mul_f16_sdwa v2, v46, v1 dst_sel:DWORD dst_unused:UNUSED_PAD src0_sel:WORD_1 src1_sel:DWORD
	v_mul_f16_sdwa v3, v46, v5 dst_sel:DWORD dst_unused:UNUSED_PAD src0_sel:WORD_1 src1_sel:DWORD
	v_fma_f16 v2, v46, v5, v2
	v_fma_f16 v1, v46, v1, -v3
	v_pack_b32_f16 v1, v2, v1
	ds_write2_b32 v17, v0, v1 offset0:152 offset1:220
	s_waitcnt vmcnt(17)
	v_lshrrev_b32_e32 v0, 16, v7
	s_waitcnt vmcnt(15)
	v_mul_f16_sdwa v1, v47, v0 dst_sel:DWORD dst_unused:UNUSED_PAD src0_sel:WORD_1 src1_sel:DWORD
	v_mul_f16_sdwa v2, v47, v7 dst_sel:DWORD dst_unused:UNUSED_PAD src0_sel:WORD_1 src1_sel:DWORD
	v_fma_f16 v1, v47, v7, v1
	v_fma_f16 v0, v47, v0, -v2
	v_pack_b32_f16 v0, v1, v0
	v_lshrrev_b32_e32 v1, 16, v9
	s_waitcnt vmcnt(14)
	v_mul_f16_sdwa v2, v45, v1 dst_sel:DWORD dst_unused:UNUSED_PAD src0_sel:WORD_1 src1_sel:DWORD
	v_mul_f16_sdwa v3, v45, v9 dst_sel:DWORD dst_unused:UNUSED_PAD src0_sel:WORD_1 src1_sel:DWORD
	v_fma_f16 v2, v45, v9, v2
	v_fma_f16 v1, v45, v1, -v3
	v_pack_b32_f16 v1, v2, v1
	ds_write2_b32 v12, v0, v1 offset0:32 offset1:100
	s_waitcnt vmcnt(13)
	v_lshrrev_b32_e32 v0, 16, v10
	s_waitcnt vmcnt(11)
	v_mul_f16_sdwa v1, v44, v0 dst_sel:DWORD dst_unused:UNUSED_PAD src0_sel:WORD_1 src1_sel:DWORD
	v_mul_f16_sdwa v2, v44, v10 dst_sel:DWORD dst_unused:UNUSED_PAD src0_sel:WORD_1 src1_sel:DWORD
	v_fma_f16 v1, v44, v10, v1
	v_fma_f16 v0, v44, v0, -v2
	v_pack_b32_f16 v0, v1, v0
	v_lshrrev_b32_e32 v1, 16, v11
	s_waitcnt vmcnt(10)
	;; [unrolled: 16-line block ×4, first 2 shown]
	v_mul_f16_sdwa v2, v39, v1 dst_sel:DWORD dst_unused:UNUSED_PAD src0_sel:WORD_1 src1_sel:DWORD
	v_mul_f16_sdwa v3, v39, v19 dst_sel:DWORD dst_unused:UNUSED_PAD src0_sel:WORD_1 src1_sel:DWORD
	v_fma_f16 v2, v39, v19, v2
	v_fma_f16 v1, v39, v1, -v3
	v_pack_b32_f16 v1, v2, v1
	ds_write2_b32 v18, v0, v1 offset0:184 offset1:252
	s_waitcnt vmcnt(1)
	v_lshrrev_b32_e32 v0, 16, v20
	s_waitcnt vmcnt(0)
	v_mul_f16_sdwa v1, v38, v0 dst_sel:DWORD dst_unused:UNUSED_PAD src0_sel:WORD_1 src1_sel:DWORD
	v_mul_f16_sdwa v2, v38, v20 dst_sel:DWORD dst_unused:UNUSED_PAD src0_sel:WORD_1 src1_sel:DWORD
	v_fma_f16 v1, v38, v20, v1
	v_fma_f16 v0, v38, v0, -v2
	v_pack_b32_f16 v0, v1, v0
	ds_write_b32 v37, v0 offset:4352
	s_waitcnt lgkmcnt(0)
	s_barrier
	ds_read2_b32 v[0:1], v37 offset1:68
	v_mul_lo_u16_e32 v2, 17, v53
	v_lshl_add_u32 v57, v2, 2, v56
	ds_read2_b32 v[4:5], v17 offset0:152 offset1:220
	ds_read2_b32 v[2:3], v12 offset0:32 offset1:100
	;; [unrolled: 1-line block ×7, first 2 shown]
	ds_read_b32 v13, v37 offset:4352
	s_waitcnt lgkmcnt(0)
	v_pk_add_f16 v14, v0, v1
	v_pk_add_f16 v14, v14, v21
	;; [unrolled: 1-line block ×16, first 2 shown]
	v_pk_add_f16 v14, v1, v13 neg_lo:[0,1] neg_hi:[0,1]
	v_pk_add_f16 v15, v13, v1
	v_mul_f16_sdwa v1, v14, s28 dst_sel:DWORD dst_unused:UNUSED_PAD src0_sel:WORD_1 src1_sel:DWORD
	v_fma_f16 v13, v15, s3, -v1
	v_fma_f16 v1, v15, s3, v1
	v_add_f16_e32 v26, v0, v1
	v_pk_mul_f16 v1, v15, s2
	s_mov_b32 s2, 0xb964b5c8
	v_pk_fma_f16 v23, v14, s2, v1 op_sel:[0,0,1] op_sel_hi:[1,1,0] neg_lo:[1,0,0] neg_hi:[1,0,0]
	v_pk_fma_f16 v1, v14, s2, v1 op_sel:[0,0,1] op_sel_hi:[1,1,0]
	s_mov_b32 s2, 0xffff
	v_add_f16_e32 v20, v0, v13
	v_bfi_b32 v13, s2, v1, v23
	v_pk_add_f16 v27, v0, v13 op_sel:[1,0] op_sel_hi:[0,1]
	v_lshrrev_b32_e32 v13, 16, v15
	v_mul_f16_e32 v28, 0xb964, v14
	v_pk_add_f16 v30, v0, v1 op_sel:[1,0] op_sel_hi:[0,1]
	v_fma_f16 v1, v13, s5, -v28
	v_fma_f16 v29, v13, s5, v28
	v_add_f16_sdwa v28, v0, v1 dst_sel:DWORD dst_unused:UNUSED_PAD src0_sel:WORD_1 src1_sel:DWORD
	v_mul_f16_sdwa v1, v14, s27 dst_sel:DWORD dst_unused:UNUSED_PAD src0_sel:WORD_1 src1_sel:DWORD
	v_fma_f16 v31, v15, s4, -v1
	v_mul_f16_e32 v32, 0xbb29, v14
	v_fma_f16 v1, v15, s4, v1
	v_add_f16_e32 v34, v0, v1
	v_fma_f16 v1, v13, s4, -v32
	v_fma_f16 v33, v13, s4, v32
	v_add_f16_sdwa v32, v0, v1 dst_sel:DWORD dst_unused:UNUSED_PAD src0_sel:WORD_1 src1_sel:DWORD
	v_mul_f16_sdwa v1, v14, s29 dst_sel:DWORD dst_unused:UNUSED_PAD src0_sel:WORD_1 src1_sel:DWORD
	v_fma_f16 v35, v15, s12, -v1
	v_mul_f16_e32 v36, 0xbbf7, v14
	v_fma_f16 v1, v15, s12, v1
	v_add_f16_e32 v61, v0, v1
	v_fma_f16 v1, v13, s12, -v36
	v_fma_f16 v60, v13, s12, v36
	v_add_f16_sdwa v36, v0, v1 dst_sel:DWORD dst_unused:UNUSED_PAD src0_sel:WORD_1 src1_sel:DWORD
	v_mul_f16_sdwa v1, v14, s16 dst_sel:DWORD dst_unused:UNUSED_PAD src0_sel:WORD_1 src1_sel:DWORD
	v_fma_f16 v62, v15, s17, -v1
	v_mul_f16_e32 v63, 0xbbb2, v14
	v_fma_f16 v1, v15, s17, v1
	v_add_f16_e32 v65, v0, v1
	v_fma_f16 v1, v13, s17, -v63
	v_fma_f16 v64, v13, s17, v63
	v_add_f16_sdwa v63, v0, v1 dst_sel:DWORD dst_unused:UNUSED_PAD src0_sel:WORD_1 src1_sel:DWORD
	v_mul_f16_sdwa v1, v14, s18 dst_sel:DWORD dst_unused:UNUSED_PAD src0_sel:WORD_1 src1_sel:DWORD
	v_fma_f16 v66, v15, s19, -v1
	v_mul_f16_e32 v67, 0xba62, v14
	v_fma_f16 v1, v15, s19, v1
	v_add_f16_e32 v69, v0, v1
	v_fma_f16 v1, v13, s19, -v67
	v_fma_f16 v68, v13, s19, v67
	v_add_f16_sdwa v67, v0, v1 dst_sel:DWORD dst_unused:UNUSED_PAD src0_sel:WORD_1 src1_sel:DWORD
	v_mul_f16_sdwa v1, v14, s20 dst_sel:DWORD dst_unused:UNUSED_PAD src0_sel:WORD_1 src1_sel:DWORD
	v_fma_f16 v70, v15, s21, -v1
	v_mul_f16_e32 v71, 0xb836, v14
	v_fma_f16 v1, v15, s21, v1
	v_add_f16_e32 v73, v0, v1
	v_fma_f16 v1, v13, s21, -v71
	v_fma_f16 v72, v13, s21, v71
	v_add_f16_sdwa v71, v0, v1 dst_sel:DWORD dst_unused:UNUSED_PAD src0_sel:WORD_1 src1_sel:DWORD
	v_pk_add_f16 v1, v21, v25 neg_lo:[0,1] neg_hi:[0,1]
	v_pk_add_f16 v13, v25, v21
	v_mul_f16_sdwa v21, v1, s30 dst_sel:DWORD dst_unused:UNUSED_PAD src0_sel:WORD_1 src1_sel:DWORD
	v_fma_f16 v25, v13, s5, -v21
	v_add_f16_e32 v25, v25, v20
	v_fma_f16 v20, v13, s5, v21
	v_add_f16_e32 v74, v20, v26
	v_pk_mul_f16 v20, v13, s22
	s_mov_b32 s22, 0xbbf7b964
	v_pk_fma_f16 v26, v1, s22, v20 op_sel:[0,0,1] op_sel_hi:[1,1,0] neg_lo:[1,0,0] neg_hi:[1,0,0]
	v_pk_fma_f16 v20, v1, s22, v20 op_sel:[0,0,1] op_sel_hi:[1,1,0]
	v_bfi_b32 v21, s2, v20, v26
	v_pk_add_f16 v27, v21, v27
	v_lshrrev_b32_e32 v21, 16, v13
	v_mul_f16_e32 v75, 0xbbf7, v1
	v_pk_add_f16 v30, v20, v30
	v_fma_f16 v20, v21, s12, -v75
	v_fma_f16 v76, v21, s12, v75
	v_add_f16_e32 v75, v20, v28
	v_mul_f16_sdwa v20, v1, s18 dst_sel:DWORD dst_unused:UNUSED_PAD src0_sel:WORD_1 src1_sel:DWORD
	v_add_f16_e32 v31, v0, v31
	v_fma_f16 v28, v13, s19, -v20
	v_add_f16_e32 v31, v28, v31
	v_mul_f16_e32 v28, 0xba62, v1
	v_fma_f16 v20, v13, s19, v20
	v_add_f16_e32 v34, v20, v34
	v_fma_f16 v20, v21, s19, -v28
	v_add_f16_sdwa v29, v0, v29 dst_sel:DWORD dst_unused:UNUSED_PAD src0_sel:WORD_1 src1_sel:DWORD
	v_add_f16_e32 v32, v20, v32
	v_mul_f16_sdwa v20, v1, s24 dst_sel:DWORD dst_unused:UNUSED_PAD src0_sel:WORD_1 src1_sel:DWORD
	v_add_f16_e32 v35, v0, v35
	v_add_f16_e32 v29, v76, v29
	v_fma_f16 v76, v21, s19, v28
	v_fma_f16 v28, v13, s25, -v20
	v_add_f16_e32 v35, v28, v35
	v_mul_f16_e32 v28, 0xb1e1, v1
	v_fma_f16 v20, v13, s25, v20
	v_add_f16_e32 v61, v20, v61
	v_fma_f16 v20, v21, s25, -v28
	s_movk_i32 s22, 0x3836
	v_add_f16_sdwa v33, v0, v33 dst_sel:DWORD dst_unused:UNUSED_PAD src0_sel:WORD_1 src1_sel:DWORD
	v_add_f16_e32 v36, v20, v36
	v_mul_f16_sdwa v20, v1, s22 dst_sel:DWORD dst_unused:UNUSED_PAD src0_sel:WORD_1 src1_sel:DWORD
	v_add_f16_e32 v62, v0, v62
	v_add_f16_e32 v33, v76, v33
	v_fma_f16 v76, v21, s25, v28
	v_fma_f16 v28, v13, s21, -v20
	v_add_f16_e32 v62, v28, v62
	v_mul_f16_e32 v28, 0x3836, v1
	v_fma_f16 v20, v13, s21, v20
	v_add_f16_e32 v65, v20, v65
	v_fma_f16 v20, v21, s21, -v28
	v_add_f16_sdwa v60, v0, v60 dst_sel:DWORD dst_unused:UNUSED_PAD src0_sel:WORD_1 src1_sel:DWORD
	v_add_f16_e32 v63, v20, v63
	v_mul_f16_sdwa v20, v1, s26 dst_sel:DWORD dst_unused:UNUSED_PAD src0_sel:WORD_1 src1_sel:DWORD
	v_add_f16_e32 v66, v0, v66
	v_add_f16_e32 v60, v76, v60
	v_fma_f16 v76, v21, s21, v28
	v_fma_f16 v28, v13, s17, -v20
	v_add_f16_e32 v66, v28, v66
	v_mul_f16_e32 v28, 0x3bb2, v1
	v_fma_f16 v20, v13, s17, v20
	v_add_f16_e32 v69, v20, v69
	v_fma_f16 v20, v21, s17, -v28
	s_movk_i32 s22, 0x3b29
	v_add_f16_sdwa v64, v0, v64 dst_sel:DWORD dst_unused:UNUSED_PAD src0_sel:WORD_1 src1_sel:DWORD
	v_add_f16_e32 v67, v20, v67
	v_mul_f16_sdwa v20, v1, s22 dst_sel:DWORD dst_unused:UNUSED_PAD src0_sel:WORD_1 src1_sel:DWORD
	v_add_f16_e32 v70, v0, v70
	v_add_f16_e32 v64, v76, v64
	v_fma_f16 v76, v21, s17, v28
	v_fma_f16 v28, v13, s4, -v20
	v_add_f16_e32 v70, v28, v70
	v_mul_f16_e32 v28, 0x3b29, v1
	v_fma_f16 v20, v13, s4, v20
	v_add_f16_e32 v73, v20, v73
	v_fma_f16 v20, v21, s4, -v28
	v_add_f16_sdwa v68, v0, v68 dst_sel:DWORD dst_unused:UNUSED_PAD src0_sel:WORD_1 src1_sel:DWORD
	v_add_f16_e32 v71, v20, v71
	v_pk_add_f16 v20, v22, v24 neg_lo:[0,1] neg_hi:[0,1]
	v_add_f16_e32 v68, v76, v68
	v_fma_f16 v76, v21, s4, v28
	v_pk_add_f16 v21, v24, v22
	v_mul_f16_sdwa v22, v20, s27 dst_sel:DWORD dst_unused:UNUSED_PAD src0_sel:WORD_1 src1_sel:DWORD
	v_fma_f16 v24, v21, s4, -v22
	v_fma_f16 v22, v21, s4, v22
	v_add_f16_e32 v24, v24, v25
	v_add_f16_e32 v25, v22, v74
	v_pk_mul_f16 v22, v21, s23
	s_mov_b32 s23, 0xba62bb29
	v_pk_fma_f16 v28, v20, s23, v22 op_sel:[0,0,1] op_sel_hi:[1,1,0] neg_lo:[1,0,0] neg_hi:[1,0,0]
	v_pk_fma_f16 v22, v20, s23, v22 op_sel:[0,0,1] op_sel_hi:[1,1,0]
	v_add_f16_sdwa v72, v0, v72 dst_sel:DWORD dst_unused:UNUSED_PAD src0_sel:WORD_1 src1_sel:DWORD
	v_bfi_b32 v74, s2, v22, v28
	v_add_f16_e32 v72, v76, v72
	v_pk_add_f16 v27, v74, v27
	v_lshrrev_b32_e32 v74, 16, v21
	v_mul_f16_e32 v76, 0xba62, v20
	v_pk_add_f16 v30, v22, v30
	v_fma_f16 v22, v74, s19, -v76
	s_movk_i32 s23, 0x31e1
	v_add_f16_e32 v75, v22, v75
	v_mul_f16_sdwa v22, v20, s23 dst_sel:DWORD dst_unused:UNUSED_PAD src0_sel:WORD_1 src1_sel:DWORD
	v_fma_f16 v77, v74, s19, v76
	v_fma_f16 v76, v21, s25, -v22
	v_add_f16_e32 v31, v76, v31
	v_mul_f16_e32 v76, 0x31e1, v20
	v_fma_f16 v22, v21, s25, v22
	v_add_f16_e32 v34, v22, v34
	v_fma_f16 v22, v74, s25, -v76
	v_add_f16_e32 v29, v77, v29
	v_fma_f16 v77, v74, s25, v76
	v_add_f16_e32 v76, v22, v32
	v_mul_f16_sdwa v22, v20, s26 dst_sel:DWORD dst_unused:UNUSED_PAD src0_sel:WORD_1 src1_sel:DWORD
	v_fma_f16 v32, v21, s17, -v22
	v_add_f16_e32 v35, v32, v35
	v_mul_f16_e32 v32, 0x3bb2, v20
	v_fma_f16 v22, v21, s17, v22
	v_add_f16_e32 v61, v22, v61
	v_fma_f16 v22, v74, s17, -v32
	s_movk_i32 s23, 0x3964
	v_add_f16_e32 v36, v22, v36
	v_mul_f16_sdwa v22, v20, s23 dst_sel:DWORD dst_unused:UNUSED_PAD src0_sel:WORD_1 src1_sel:DWORD
	v_add_f16_e32 v33, v77, v33
	v_fma_f16 v77, v74, s17, v32
	v_fma_f16 v32, v21, s5, -v22
	v_add_f16_e32 v62, v32, v62
	v_mul_f16_e32 v32, 0x3964, v20
	v_fma_f16 v22, v21, s5, v22
	v_add_f16_e32 v65, v22, v65
	v_fma_f16 v22, v74, s5, -v32
	v_add_f16_e32 v63, v22, v63
	v_mul_f16_sdwa v22, v20, s28 dst_sel:DWORD dst_unused:UNUSED_PAD src0_sel:WORD_1 src1_sel:DWORD
	v_add_f16_e32 v60, v77, v60
	v_fma_f16 v77, v74, s5, v32
	v_fma_f16 v32, v21, s3, -v22
	v_add_f16_e32 v66, v32, v66
	v_mul_f16_e32 v32, 0xb5c8, v20
	v_fma_f16 v22, v21, s3, v22
	v_add_f16_e32 v69, v22, v69
	v_fma_f16 v22, v74, s3, -v32
	;; [unrolled: 10-line block ×3, first 2 shown]
	v_add_f16_e32 v71, v22, v71
	v_pk_add_f16 v22, v9, v10
	v_pk_add_f16 v9, v10, v9 neg_lo:[0,1] neg_hi:[0,1]
	v_mul_f16_sdwa v10, v9, s29 dst_sel:DWORD dst_unused:UNUSED_PAD src0_sel:WORD_1 src1_sel:DWORD
	v_add_f16_e32 v68, v77, v68
	v_fma_f16 v77, v74, s12, v32
	v_fma_f16 v32, v22, s12, -v10
	v_fma_f16 v10, v22, s12, v10
	v_add_f16_e32 v25, v10, v25
	v_pk_mul_f16 v10, v22, s31
	s_mov_b32 s31, 0xb1e1bbf7
	v_add_f16_e32 v24, v32, v24
	v_pk_fma_f16 v32, v9, s31, v10 op_sel:[0,0,1] op_sel_hi:[1,1,0] neg_lo:[1,0,0] neg_hi:[1,0,0]
	v_pk_fma_f16 v10, v9, s31, v10 op_sel:[0,0,1] op_sel_hi:[1,1,0]
	v_bfi_b32 v74, s2, v10, v32
	v_add_f16_e32 v72, v77, v72
	v_pk_add_f16 v27, v74, v27
	v_lshrrev_b32_e32 v74, 16, v22
	v_mul_f16_e32 v77, 0xb1e1, v9
	v_pk_add_f16 v30, v10, v30
	v_fma_f16 v10, v74, s25, -v77
	v_add_f16_e32 v75, v10, v75
	v_mul_f16_sdwa v10, v9, s26 dst_sel:DWORD dst_unused:UNUSED_PAD src0_sel:WORD_1 src1_sel:DWORD
	v_fma_f16 v78, v74, s25, v77
	v_fma_f16 v77, v22, s17, -v10
	v_add_f16_e32 v31, v77, v31
	v_mul_f16_e32 v77, 0x3bb2, v9
	v_fma_f16 v10, v22, s17, v10
	v_add_f16_e32 v34, v10, v34
	v_fma_f16 v10, v74, s17, -v77
	s_movk_i32 s26, 0x35c8
	v_add_f16_e32 v76, v10, v76
	v_mul_f16_sdwa v10, v9, s26 dst_sel:DWORD dst_unused:UNUSED_PAD src0_sel:WORD_1 src1_sel:DWORD
	v_add_f16_e32 v29, v78, v29
	v_fma_f16 v78, v74, s17, v77
	v_fma_f16 v77, v22, s3, -v10
	v_add_f16_e32 v35, v77, v35
	v_mul_f16_e32 v77, 0x35c8, v9
	v_fma_f16 v10, v22, s3, v10
	v_add_f16_e32 v61, v10, v61
	v_fma_f16 v10, v74, s3, -v77
	v_add_f16_e32 v36, v10, v36
	v_mul_f16_sdwa v10, v9, s27 dst_sel:DWORD dst_unused:UNUSED_PAD src0_sel:WORD_1 src1_sel:DWORD
	v_add_f16_e32 v33, v78, v33
	v_fma_f16 v78, v74, s3, v77
	v_fma_f16 v77, v22, s4, -v10
	v_add_f16_e32 v62, v77, v62
	v_mul_f16_e32 v77, 0xbb29, v9
	v_fma_f16 v10, v22, s4, v10
	v_add_f16_e32 v65, v10, v65
	v_fma_f16 v10, v74, s4, -v77
	;; [unrolled: 10-line block ×3, first 2 shown]
	s_movk_i32 s31, 0x3a62
	v_add_f16_e32 v67, v10, v67
	v_mul_f16_sdwa v10, v9, s31 dst_sel:DWORD dst_unused:UNUSED_PAD src0_sel:WORD_1 src1_sel:DWORD
	v_add_f16_e32 v64, v78, v64
	v_fma_f16 v78, v74, s21, v77
	v_fma_f16 v77, v22, s19, -v10
	v_add_f16_e32 v70, v77, v70
	v_mul_f16_e32 v77, 0x3a62, v9
	v_fma_f16 v10, v22, s19, v10
	v_add_f16_e32 v73, v10, v73
	v_fma_f16 v10, v74, s19, -v77
	v_add_f16_e32 v71, v10, v71
	v_pk_add_f16 v10, v8, v11
	v_pk_add_f16 v8, v11, v8 neg_lo:[0,1] neg_hi:[0,1]
	v_mul_f16_sdwa v11, v8, s16 dst_sel:DWORD dst_unused:UNUSED_PAD src0_sel:WORD_1 src1_sel:DWORD
	v_add_f16_e32 v68, v78, v68
	v_fma_f16 v78, v74, s19, v77
	v_fma_f16 v74, v10, s17, -v11
	v_fma_f16 v11, v10, s17, v11
	v_add_f16_e32 v25, v11, v25
	v_pk_mul_f16 v11, v10, s33
	s_mov_b32 s33, 0x3836bbb2
	v_add_f16_e32 v24, v74, v24
	v_pk_fma_f16 v74, v8, s33, v11 op_sel:[0,0,1] op_sel_hi:[1,1,0] neg_lo:[1,0,0] neg_hi:[1,0,0]
	v_pk_fma_f16 v11, v8, s33, v11 op_sel:[0,0,1] op_sel_hi:[1,1,0]
	v_bfi_b32 v77, s2, v11, v74
	v_add_f16_e32 v72, v78, v72
	v_pk_add_f16 v27, v77, v27
	v_lshrrev_b32_e32 v77, 16, v10
	v_mul_f16_e32 v78, 0x3836, v8
	v_pk_add_f16 v30, v11, v30
	v_fma_f16 v11, v77, s21, -v78
	v_add_f16_e32 v75, v11, v75
	v_mul_f16_sdwa v11, v8, s23 dst_sel:DWORD dst_unused:UNUSED_PAD src0_sel:WORD_1 src1_sel:DWORD
	v_fma_f16 v79, v77, s21, v78
	v_fma_f16 v78, v10, s5, -v11
	v_add_f16_e32 v31, v78, v31
	v_mul_f16_e32 v78, 0x3964, v8
	v_fma_f16 v11, v10, s5, v11
	v_add_f16_e32 v34, v11, v34
	v_fma_f16 v11, v77, s5, -v78
	v_add_f16_e32 v76, v11, v76
	v_mul_f16_sdwa v11, v8, s27 dst_sel:DWORD dst_unused:UNUSED_PAD src0_sel:WORD_1 src1_sel:DWORD
	v_add_f16_e32 v29, v79, v29
	v_fma_f16 v79, v77, s5, v78
	v_fma_f16 v78, v10, s4, -v11
	v_add_f16_e32 v35, v78, v35
	v_mul_f16_e32 v78, 0xbb29, v8
	v_fma_f16 v11, v10, s4, v11
	v_add_f16_e32 v61, v11, v61
	v_fma_f16 v11, v77, s4, -v78
	v_add_f16_e32 v36, v11, v36
	v_mul_f16_sdwa v11, v8, s24 dst_sel:DWORD dst_unused:UNUSED_PAD src0_sel:WORD_1 src1_sel:DWORD
	v_add_f16_e32 v33, v79, v33
	v_fma_f16 v79, v77, s4, v78
	v_fma_f16 v78, v10, s25, -v11
	v_add_f16_e32 v62, v78, v62
	v_mul_f16_e32 v78, 0xb1e1, v8
	v_fma_f16 v11, v10, s25, v11
	v_add_f16_e32 v65, v11, v65
	v_fma_f16 v11, v77, s25, -v78
	s_movk_i32 s27, 0x3bf7
	v_add_f16_e32 v63, v11, v63
	v_mul_f16_sdwa v11, v8, s27 dst_sel:DWORD dst_unused:UNUSED_PAD src0_sel:WORD_1 src1_sel:DWORD
	v_add_f16_e32 v60, v79, v60
	v_fma_f16 v79, v77, s25, v78
	v_fma_f16 v78, v10, s12, -v11
	v_add_f16_e32 v66, v78, v66
	v_mul_f16_e32 v78, 0x3bf7, v8
	v_fma_f16 v11, v10, s12, v11
	v_add_f16_e32 v69, v11, v69
	v_fma_f16 v11, v77, s12, -v78
	v_add_f16_e32 v67, v11, v67
	v_mul_f16_sdwa v11, v8, s28 dst_sel:DWORD dst_unused:UNUSED_PAD src0_sel:WORD_1 src1_sel:DWORD
	v_add_f16_e32 v64, v79, v64
	v_fma_f16 v79, v77, s12, v78
	v_fma_f16 v78, v10, s3, -v11
	v_add_f16_e32 v70, v78, v70
	v_mul_f16_e32 v78, 0xb5c8, v8
	v_fma_f16 v11, v10, s3, v11
	v_add_f16_e32 v73, v11, v73
	v_fma_f16 v11, v77, s3, -v78
	v_add_f16_e32 v71, v11, v71
	v_pk_add_f16 v11, v7, v4
	v_pk_add_f16 v7, v4, v7 neg_lo:[0,1] neg_hi:[0,1]
	v_mul_f16_sdwa v4, v7, s18 dst_sel:DWORD dst_unused:UNUSED_PAD src0_sel:WORD_1 src1_sel:DWORD
	v_add_f16_e32 v68, v79, v68
	v_fma_f16 v79, v77, s3, v78
	v_fma_f16 v77, v11, s19, -v4
	v_fma_f16 v4, v11, s19, v4
	s_mov_b32 s33, 0xb8d2b461
	v_add_f16_e32 v24, v77, v24
	v_add_f16_e32 v77, v4, v25
	v_pk_mul_f16 v4, v11, s33
	s_mov_b32 s33, 0x3bb2ba62
	v_pk_fma_f16 v78, v7, s33, v4 op_sel:[0,0,1] op_sel_hi:[1,1,0] neg_lo:[1,0,0] neg_hi:[1,0,0]
	v_pk_fma_f16 v4, v7, s33, v4 op_sel:[0,0,1] op_sel_hi:[1,1,0]
	v_bfi_b32 v25, s2, v4, v78
	v_add_f16_e32 v72, v79, v72
	v_pk_add_f16 v79, v25, v27
	v_lshrrev_b32_e32 v27, 16, v11
	v_mul_f16_e32 v25, 0x3bb2, v7
	v_fma_f16 v80, v27, s17, v25
	v_fma_f16 v25, v27, s17, -v25
	v_pk_add_f16 v4, v4, v30
	v_add_f16_e32 v30, v25, v75
	v_mul_f16_sdwa v25, v7, s28 dst_sel:DWORD dst_unused:UNUSED_PAD src0_sel:WORD_1 src1_sel:DWORD
	v_fma_f16 v75, v11, s3, -v25
	v_add_f16_e32 v31, v75, v31
	v_mul_f16_e32 v75, 0xb5c8, v7
	v_fma_f16 v25, v11, s3, v25
	v_add_f16_e32 v29, v80, v29
	v_fma_f16 v80, v27, s3, v75
	v_add_f16_e32 v34, v25, v34
	v_fma_f16 v25, v27, s3, -v75
	v_mul_f16_sdwa v75, v7, s20 dst_sel:DWORD dst_unused:UNUSED_PAD src0_sel:WORD_1 src1_sel:DWORD
	v_add_f16_e32 v25, v25, v76
	v_fma_f16 v76, v11, s21, -v75
	v_add_f16_e32 v35, v76, v35
	v_mul_f16_e32 v76, 0xb836, v7
	v_fma_f16 v75, v11, s21, v75
	v_add_f16_e32 v61, v75, v61
	v_fma_f16 v75, v27, s21, -v76
	v_add_f16_e32 v36, v75, v36
	v_mul_f16_sdwa v75, v7, s27 dst_sel:DWORD dst_unused:UNUSED_PAD src0_sel:WORD_1 src1_sel:DWORD
	v_add_f16_e32 v33, v80, v33
	v_fma_f16 v80, v27, s21, v76
	v_fma_f16 v76, v11, s12, -v75
	v_add_f16_e32 v62, v76, v62
	v_mul_f16_e32 v76, 0x3bf7, v7
	v_fma_f16 v75, v11, s12, v75
	v_add_f16_e32 v65, v75, v65
	v_fma_f16 v75, v27, s12, -v76
	v_add_f16_e32 v63, v75, v63
	v_mul_f16_sdwa v75, v7, s30 dst_sel:DWORD dst_unused:UNUSED_PAD src0_sel:WORD_1 src1_sel:DWORD
	v_add_f16_e32 v60, v80, v60
	v_fma_f16 v80, v27, s12, v76
	;; [unrolled: 10-line block ×3, first 2 shown]
	v_fma_f16 v76, v11, s25, -v75
	v_add_f16_e32 v70, v76, v70
	v_mul_f16_e32 v76, 0xb1e1, v7
	v_add_f16_e32 v68, v80, v68
	v_fma_f16 v80, v27, s25, v76
	v_fma_f16 v27, v27, s25, -v76
	v_add_f16_e32 v71, v27, v71
	v_pk_add_f16 v27, v6, v5
	v_pk_add_f16 v5, v5, v6 neg_lo:[0,1] neg_hi:[0,1]
	v_fma_f16 v75, v11, s25, v75
	v_mul_f16_sdwa v6, v5, s20 dst_sel:DWORD dst_unused:UNUSED_PAD src0_sel:WORD_1 src1_sel:DWORD
	v_add_f16_e32 v73, v75, v73
	v_fma_f16 v75, v27, s21, -v6
	v_fma_f16 v6, v27, s21, v6
	s_mov_b32 s30, 0xbacd3722
	v_add_f16_e32 v24, v75, v24
	v_add_f16_e32 v75, v6, v77
	v_pk_mul_f16 v6, v27, s30
	s_mov_b32 s30, 0x3b29b836
	v_pk_fma_f16 v76, v5, s30, v6 op_sel:[0,0,1] op_sel_hi:[1,1,0] neg_lo:[1,0,0] neg_hi:[1,0,0]
	v_pk_fma_f16 v6, v5, s30, v6 op_sel:[0,0,1] op_sel_hi:[1,1,0]
	v_bfi_b32 v77, s2, v6, v76
	v_add_f16_e32 v72, v80, v72
	v_pk_add_f16 v77, v77, v79
	v_lshrrev_b32_e32 v79, 16, v27
	v_mul_f16_e32 v80, 0x3b29, v5
	v_fma_f16 v81, v79, s4, v80
	v_add_f16_e32 v81, v81, v29
	v_fma_f16 v29, v79, s4, -v80
	v_add_f16_e32 v80, v29, v30
	v_mul_f16_sdwa v29, v5, s29 dst_sel:DWORD dst_unused:UNUSED_PAD src0_sel:WORD_1 src1_sel:DWORD
	v_fma_f16 v30, v27, s12, -v29
	v_add_f16_e32 v82, v30, v31
	v_mul_f16_e32 v30, 0xbbf7, v5
	v_fma_f16 v29, v27, s12, v29
	v_fma_f16 v31, v79, s12, v30
	v_add_f16_e32 v34, v29, v34
	v_fma_f16 v29, v79, s12, -v30
	v_mul_f16_sdwa v30, v5, s31 dst_sel:DWORD dst_unused:UNUSED_PAD src0_sel:WORD_1 src1_sel:DWORD
	v_add_f16_e32 v83, v31, v33
	v_fma_f16 v31, v27, s19, -v30
	v_add_f16_e32 v35, v31, v35
	v_mul_f16_e32 v31, 0x3a62, v5
	v_fma_f16 v30, v27, s19, v30
	v_add_f16_e32 v61, v30, v61
	v_fma_f16 v30, v79, s19, -v31
	v_add_f16_e32 v36, v30, v36
	v_mul_f16_sdwa v30, v5, s28 dst_sel:DWORD dst_unused:UNUSED_PAD src0_sel:WORD_1 src1_sel:DWORD
	v_fma_f16 v33, v79, s19, v31
	v_fma_f16 v31, v27, s3, -v30
	v_add_f16_e32 v62, v31, v62
	v_mul_f16_e32 v31, 0xb5c8, v5
	v_fma_f16 v30, v27, s3, v30
	v_add_f16_e32 v65, v30, v65
	v_fma_f16 v30, v79, s3, -v31
	v_add_f16_e32 v63, v30, v63
	v_mul_f16_sdwa v30, v5, s24 dst_sel:DWORD dst_unused:UNUSED_PAD src0_sel:WORD_1 src1_sel:DWORD
	v_add_f16_e32 v60, v33, v60
	v_fma_f16 v33, v79, s3, v31
	v_fma_f16 v31, v27, s25, -v30
	v_add_f16_e32 v66, v31, v66
	v_mul_f16_e32 v31, 0xb1e1, v5
	v_fma_f16 v30, v27, s25, v30
	v_add_f16_e32 v69, v30, v69
	v_fma_f16 v30, v79, s25, -v31
	v_add_f16_e32 v67, v30, v67
	v_mul_f16_sdwa v30, v5, s23 dst_sel:DWORD dst_unused:UNUSED_PAD src0_sel:WORD_1 src1_sel:DWORD
	v_add_f16_e32 v64, v33, v64
	v_fma_f16 v33, v79, s25, v31
	v_fma_f16 v31, v27, s5, -v30
	v_add_f16_e32 v70, v31, v70
	v_mul_f16_e32 v31, 0x3964, v5
	v_fma_f16 v30, v27, s5, v30
	v_add_f16_e32 v68, v33, v68
	v_fma_f16 v33, v79, s5, v31
	v_add_f16_e32 v73, v30, v73
	v_fma_f16 v30, v79, s5, -v31
	v_pk_add_f16 v31, v3, v2
	v_pk_add_f16 v3, v2, v3 neg_lo:[0,1] neg_hi:[0,1]
	v_mul_f16_sdwa v2, v3, s24 dst_sel:DWORD dst_unused:UNUSED_PAD src0_sel:WORD_1 src1_sel:DWORD
	v_add_f16_e32 v71, v30, v71
	v_fma_f16 v30, v31, s25, -v2
	v_fma_f16 v2, v31, s25, v2
	s_mov_b32 s28, 0xbbdd3b76
	v_add_f16_sdwa v23, v0, v23 dst_sel:DWORD dst_unused:UNUSED_PAD src0_sel:WORD_1 src1_sel:DWORD
	v_add_f16_e32 v79, v30, v24
	v_add_f16_e32 v24, v2, v75
	v_pk_mul_f16 v2, v31, s28
	s_mov_b32 s28, 0x35c8b1e1
	v_add_f16_e32 v23, v26, v23
	v_add_f16_e32 v72, v33, v72
	v_pk_fma_f16 v33, v3, s28, v2 op_sel:[0,0,1] op_sel_hi:[1,1,0] neg_lo:[1,0,0] neg_hi:[1,0,0]
	v_add_f16_e32 v23, v28, v23
	v_pk_fma_f16 v26, v3, s28, v2 op_sel:[0,0,1] op_sel_hi:[1,1,0]
	v_add_f16_e32 v23, v32, v23
	v_bfi_b32 v26, s2, v26, v33
	v_add_f16_e32 v23, v74, v23
	v_pk_add_f16 v74, v26, v77
	v_lshrrev_b32_e32 v75, 16, v31
	v_mul_f16_e32 v26, 0x35c8, v3
	v_add_f16_e32 v23, v78, v23
	v_fma_f16 v28, v75, s3, v26
	v_mul_f16_sdwa v32, v3, s20 dst_sel:DWORD dst_unused:UNUSED_PAD src0_sel:WORD_1 src1_sel:DWORD
	v_add_f16_e32 v23, v76, v23
	v_add_f16_e32 v76, v28, v81
	v_fma_f16 v28, v31, s21, -v32
	v_fma_f16 v32, v31, s21, v32
	v_fma_f16 v26, v75, s3, -v26
	v_add_f16_e32 v32, v32, v34
	v_mul_f16_sdwa v34, v3, s23 dst_sel:DWORD dst_unused:UNUSED_PAD src0_sel:WORD_1 src1_sel:DWORD
	v_add_f16_e32 v26, v26, v80
	v_fma_f16 v80, v31, s5, -v34
	v_add_f16_e32 v80, v80, v35
	v_mul_f16_e32 v35, 0x3964, v3
	v_fma_f16 v81, v75, s5, v35
	v_fma_f16 v35, v75, s5, -v35
	v_add_f16_e32 v35, v35, v36
	v_mul_f16_sdwa v36, v3, s18 dst_sel:DWORD dst_unused:UNUSED_PAD src0_sel:WORD_1 src1_sel:DWORD
	v_add_f16_e32 v81, v81, v60
	v_fma_f16 v60, v31, s19, -v36
	v_add_f16_e32 v77, v28, v82
	v_mul_f16_e32 v28, 0xbacd, v75
	v_fma_f16 v34, v31, s5, v34
	v_add_f16_e32 v82, v60, v62
	v_mul_f16_e32 v60, 0xba62, v3
	v_fma_f16 v78, v3, s20, v28
	v_add_f16_e32 v34, v34, v61
	v_fma_f16 v61, v75, s19, v60
	v_add_f16_e32 v78, v78, v83
	v_add_f16_e32 v83, v61, v64
	v_mul_f16_sdwa v61, v3, s22 dst_sel:DWORD dst_unused:UNUSED_PAD src0_sel:WORD_1 src1_sel:DWORD
	v_fma_f16 v36, v31, s19, v36
	v_fma_f16 v62, v31, s4, -v61
	v_add_f16_e32 v36, v36, v65
	v_fma_f16 v60, v75, s19, -v60
	v_add_f16_e32 v65, v62, v66
	v_mul_f16_e32 v62, 0x3b29, v3
	v_add_f16_e32 v60, v60, v63
	v_fma_f16 v63, v75, s4, v62
	v_add_f16_e32 v66, v63, v68
	v_mul_f16_sdwa v63, v3, s16 dst_sel:DWORD dst_unused:UNUSED_PAD src0_sel:WORD_1 src1_sel:DWORD
	v_fma_f16 v62, v75, s4, -v62
	v_fma_f16 v64, v31, s17, -v63
	v_add_f16_e32 v62, v62, v67
	v_add_f16_e32 v67, v64, v70
	v_mul_f16_e32 v64, 0xbbb2, v3
	v_fma_f16 v68, v75, s17, v64
	v_add_f16_e32 v68, v68, v72
	v_pack_b32_f16 v65, v65, v66
	v_pack_b32_f16 v66, v82, v83
	s_barrier
	ds_write2_b32 v57, v66, v65 offset0:5 offset1:6
	v_pack_b32_f16 v65, v67, v68
	v_pk_mul_f16 v15, v15, s25 op_sel_hi:[1,0]
	ds_write2_b32 v57, v19, v65 offset1:7
	v_pk_fma_f16 v19, v14, s24, v15 op_sel:[0,0,1] op_sel_hi:[1,0,0] neg_lo:[1,0,0] neg_hi:[1,0,0]
	v_pk_fma_f16 v14, v14, s24, v15 op_sel:[0,0,1] op_sel_hi:[1,0,0]
	v_pk_mul_f16 v13, v13, s3 op_sel_hi:[1,0]
	v_pk_add_f16 v19, v0, v19 op_sel:[1,0] op_sel_hi:[0,1]
	v_pk_add_f16 v0, v0, v14 op_sel:[1,0] op_sel_hi:[0,1]
	v_pk_fma_f16 v14, v1, s26, v13 op_sel:[0,0,1] op_sel_hi:[1,0,0] neg_lo:[1,0,0] neg_hi:[1,0,0]
	v_pk_fma_f16 v1, v1, s26, v13 op_sel:[0,0,1] op_sel_hi:[1,0,0]
	v_pk_add_f16 v0, v1, v0
	v_pk_mul_f16 v1, v21, s21 op_sel_hi:[1,0]
	v_pk_fma_f16 v13, v20, s20, v1 op_sel:[0,0,1] op_sel_hi:[1,0,0] neg_lo:[1,0,0] neg_hi:[1,0,0]
	v_pk_fma_f16 v1, v20, s20, v1 op_sel:[0,0,1] op_sel_hi:[1,0,0]
	v_pk_add_f16 v14, v14, v19
	v_pk_add_f16 v0, v1, v0
	v_pk_mul_f16 v1, v22, s5 op_sel_hi:[1,0]
	v_pk_add_f16 v13, v13, v14
	v_pk_fma_f16 v14, v9, s23, v1 op_sel:[0,0,1] op_sel_hi:[1,0,0] neg_lo:[1,0,0] neg_hi:[1,0,0]
	v_pk_fma_f16 v1, v9, s23, v1 op_sel:[0,0,1] op_sel_hi:[1,0,0]
	v_pk_add_f16 v0, v1, v0
	v_pk_mul_f16 v1, v10, s19 op_sel_hi:[1,0]
	v_pk_fma_f16 v9, v8, s18, v1 op_sel:[0,0,1] op_sel_hi:[1,0,0] neg_lo:[1,0,0] neg_hi:[1,0,0]
	v_pk_fma_f16 v1, v8, s18, v1 op_sel:[0,0,1] op_sel_hi:[1,0,0]
	v_pk_add_f16 v0, v1, v0
	v_pk_mul_f16 v1, v11, s4 op_sel_hi:[1,0]
	v_pk_fma_f16 v8, v7, s22, v1 op_sel:[0,0,1] op_sel_hi:[1,0,0] neg_lo:[1,0,0] neg_hi:[1,0,0]
	v_pk_fma_f16 v1, v7, s22, v1 op_sel:[0,0,1] op_sel_hi:[1,0,0]
	v_pk_add_f16 v13, v14, v13
	v_pk_add_f16 v0, v1, v0
	v_pk_mul_f16 v1, v27, s17 op_sel_hi:[1,0]
	v_pk_add_f16 v9, v9, v13
	v_pk_fma_f16 v7, v5, s16, v1 op_sel:[0,0,1] op_sel_hi:[1,0,0] neg_lo:[1,0,0] neg_hi:[1,0,0]
	v_pk_fma_f16 v1, v5, s16, v1 op_sel:[0,0,1] op_sel_hi:[1,0,0]
	v_pk_add_f16 v8, v8, v9
	v_pk_add_f16 v0, v1, v0
	v_pk_mul_f16 v1, v31, s12 op_sel_hi:[1,0]
	v_pk_add_f16 v7, v7, v8
	v_pk_fma_f16 v5, v3, s27, v1 op_sel:[0,0,1] op_sel_hi:[1,0,0] neg_lo:[1,0,0] neg_hi:[1,0,0]
	v_pk_fma_f16 v1, v3, s27, v1 op_sel:[0,0,1] op_sel_hi:[1,0,0]
	v_fma_f16 v61, v31, s4, v61
	v_fma_f16 v63, v31, s17, v63
	v_fma_f16 v64, v75, s17, -v64
	v_pk_add_f16 v5, v5, v7
	v_pk_add_f16 v0, v1, v0
	v_add_f16_e32 v61, v61, v69
	v_add_f16_e32 v63, v63, v73
	;; [unrolled: 1-line block ×3, first 2 shown]
	v_alignbit_b32 v1, v5, v0, 16
	v_alignbit_b32 v0, v0, v5, 16
	ds_write2_b32 v57, v0, v1 offset0:8 offset1:9
	v_pack_b32_f16 v0, v61, v62
	v_pack_b32_f16 v1, v63, v64
	v_pk_mul_f16 v30, v3, s28
	ds_write2_b32 v57, v1, v0 offset0:10 offset1:11
	v_pack_b32_f16 v0, v34, v35
	v_pack_b32_f16 v1, v36, v60
	v_add_f16_e32 v23, v33, v23
	v_mul_f16_e32 v33, 0xb836, v3
	ds_write2_b32 v57, v1, v0 offset0:12 offset1:13
	v_pack_b32_f16 v0, v29, v2
	v_bfi_b32 v1, s2, v25, v30
	v_pk_add_f16 v0, v0, v1
	v_bfi_b32 v1, s2, v33, v4
	v_pk_add_f16 v1, v28, v1 neg_lo:[0,1] neg_hi:[0,1]
	v_pk_add_f16 v2, v6, v4
	v_bfi_b32 v1, s2, v1, v2
	v_pk_add_f16 v0, v1, v0
	v_alignbit_b32 v1, v26, v0, 16
	v_pack_b32_f16 v0, v32, v0
	v_alignbit_b32 v69, v76, v74, 16
	v_pack_b32_f16 v70, v79, v74
	ds_write2_b32 v57, v0, v1 offset0:14 offset1:15
	v_pack_b32_f16 v0, v24, v23
	ds_write2_b32 v57, v70, v69 offset0:1 offset1:2
	v_pack_b32_f16 v69, v80, v81
	v_pack_b32_f16 v70, v77, v78
	ds_write_b32 v57, v0 offset:64
	v_add_u32_e32 v0, 0xa00, v37
	ds_write2_b32 v57, v70, v69 offset0:3 offset1:4
	s_waitcnt lgkmcnt(0)
	s_barrier
	ds_read2_b32 v[6:7], v37 offset1:68
	ds_read2_b32 v[14:15], v12 offset0:66 offset1:134
	ds_read2_b32 v[4:5], v37 offset0:136 offset1:204
	;; [unrolled: 1-line block ×6, first 2 shown]
	v_add_u32_e32 v8, 0xe00, v37
	ds_read2_b32 v[8:9], v8 offset0:90 offset1:158
	v_cmp_gt_u16_e64 s[2:3], 34, v53
                                        ; implicit-def: $vgpr19
                                        ; implicit-def: $vgpr20
	s_and_saveexec_b64 s[4:5], s[2:3]
	s_cbranch_execz .LBB0_3
; %bb.2:
	ds_read_b32 v24, v37 offset:2176
	ds_read_b32 v19, v37 offset:4488
	s_waitcnt lgkmcnt(1)
	v_lshrrev_b32_e32 v23, 16, v24
	s_waitcnt lgkmcnt(0)
	v_lshrrev_b32_e32 v20, 16, v19
.LBB0_3:
	s_or_b64 exec, exec, s[4:5]
	s_movk_i32 s4, 0x110
	v_add_co_u32_e32 v22, vcc, s4, v53
	s_movk_i32 s4, 0x154
	v_add_co_u32_e32 v25, vcc, s4, v53
	;; [unrolled: 2-line block ×4, first 2 shown]
	v_add_co_u32_e32 v27, vcc, s4, v53
	s_movk_i32 s4, 0x220
	v_add_co_u32_e32 v17, vcc, s4, v53
	v_addc_co_u32_e64 v18, s[4:5], 0, 0, vcc
	s_movk_i32 s4, 0xf1
	v_add_u16_e32 v35, 0x88, v53
	v_mul_lo_u16_sdwa v36, v35, s4 dst_sel:DWORD dst_unused:UNUSED_PAD src0_sel:BYTE_0 src1_sel:DWORD
	v_add_u16_e32 v32, 0x44, v53
	v_lshrrev_b16_e32 v36, 12, v36
	v_mul_lo_u16_sdwa v28, v53, s4 dst_sel:DWORD dst_unused:UNUSED_PAD src0_sel:BYTE_0 src1_sel:DWORD
	v_mul_lo_u16_sdwa v33, v32, s4 dst_sel:DWORD dst_unused:UNUSED_PAD src0_sel:BYTE_0 src1_sel:DWORD
	v_mul_lo_u16_e32 v60, 17, v36
	s_mov_b32 s4, 0xf0f1
	v_sub_u16_e32 v35, v35, v60
	v_mul_u32_u24_sdwa v60, v21, s4 dst_sel:DWORD dst_unused:UNUSED_PAD src0_sel:WORD_0 src1_sel:DWORD
	v_lshrrev_b16_e32 v28, 12, v28
	v_lshrrev_b16_e32 v33, 12, v33
	v_lshrrev_b32_e32 v74, 20, v60
	v_mul_lo_u16_e32 v29, 17, v28
	v_mul_lo_u16_e32 v34, 17, v33
	;; [unrolled: 1-line block ×3, first 2 shown]
	v_sub_u16_e32 v29, v53, v29
	v_mov_b32_e32 v30, 2
	v_sub_u16_e32 v32, v32, v34
	v_sub_u16_e32 v21, v21, v60
	v_lshlrev_b32_sdwa v31, v30, v29 dst_sel:DWORD dst_unused:UNUSED_PAD src0_sel:DWORD src1_sel:BYTE_0
	v_lshlrev_b32_sdwa v34, v30, v32 dst_sel:DWORD dst_unused:UNUSED_PAD src0_sel:DWORD src1_sel:BYTE_0
	;; [unrolled: 1-line block ×3, first 2 shown]
	v_lshlrev_b32_e32 v60, 2, v21
	v_mul_u32_u24_sdwa v61, v22, s4 dst_sel:DWORD dst_unused:UNUSED_PAD src0_sel:WORD_0 src1_sel:DWORD
	global_load_dword v62, v31, s[14:15]
	global_load_dword v65, v60, s[14:15]
	;; [unrolled: 1-line block ×3, first 2 shown]
	v_lshrrev_b32_e32 v31, 20, v61
	v_mul_lo_u16_e32 v61, 17, v31
	v_sub_u16_e32 v22, v22, v61
	global_load_dword v63, v34, s[14:15]
	v_mul_u32_u24_sdwa v61, v25, s4 dst_sel:DWORD dst_unused:UNUSED_PAD src0_sel:WORD_0 src1_sel:DWORD
	v_lshrrev_b32_e32 v76, 20, v61
	v_mul_u32_u24_sdwa v60, v26, s4 dst_sel:DWORD dst_unused:UNUSED_PAD src0_sel:WORD_0 src1_sel:DWORD
	v_mul_lo_u16_e32 v30, 17, v76
	v_lshrrev_b32_e32 v77, 20, v60
	v_sub_u16_e32 v25, v25, v30
	v_mul_lo_u16_e32 v60, 17, v77
	v_lshlrev_b32_e32 v30, 2, v25
	global_load_dword v68, v30, s[14:15]
	v_sub_u16_e32 v26, v26, v60
	v_mul_u32_u24_sdwa v60, v27, s4 dst_sel:DWORD dst_unused:UNUSED_PAD src0_sel:WORD_0 src1_sel:DWORD
	v_lshlrev_b32_e32 v34, 2, v22
	v_lshrrev_b32_e32 v30, 20, v60
	global_load_dword v66, v34, s[14:15]
	v_mul_lo_u16_e32 v60, 17, v30
	v_lshlrev_b32_e32 v34, 2, v26
	v_sub_u16_e32 v27, v27, v60
	global_load_dword v69, v34, s[14:15]
	v_lshlrev_b32_e32 v34, 2, v27
	global_load_dword v67, v34, s[14:15]
	v_mul_u32_u24_sdwa v34, v17, s4 dst_sel:DWORD dst_unused:UNUSED_PAD src0_sel:WORD_0 src1_sel:DWORD
	v_lshrrev_b32_e32 v60, 20, v34
	v_mul_lo_u16_e32 v34, 17, v60
	v_sub_u16_e32 v61, v17, v34
	v_lshlrev_b32_e32 v34, 2, v61
	global_load_dword v70, v34, s[14:15]
	s_waitcnt lgkmcnt(6)
	v_lshrrev_b32_e32 v71, 16, v14
	v_lshrrev_b32_e32 v73, 16, v15
	s_waitcnt lgkmcnt(4)
	v_lshrrev_b32_e32 v78, 16, v12
	v_lshrrev_b32_e32 v80, 16, v13
	;; [unrolled: 3-line block ×4, first 2 shown]
	v_lshrrev_b32_e32 v34, 16, v6
	v_lshrrev_b32_e32 v72, 16, v7
	s_waitcnt vmcnt(0)
	s_barrier
	v_lshrrev_b32_e32 v75, 16, v4
	v_lshrrev_b32_e32 v79, 16, v5
	;; [unrolled: 1-line block ×6, first 2 shown]
	v_mul_f16_sdwa v89, v71, v62 dst_sel:DWORD dst_unused:UNUSED_PAD src0_sel:DWORD src1_sel:WORD_1
	v_fma_f16 v89, v14, v62, -v89
	v_mul_f16_sdwa v14, v14, v62 dst_sel:DWORD dst_unused:UNUSED_PAD src0_sel:DWORD src1_sel:WORD_1
	v_fma_f16 v14, v71, v62, v14
	v_sub_f16_e32 v14, v34, v14
	v_fma_f16 v34, v34, 2.0, -v14
	v_mul_f16_sdwa v71, v73, v63 dst_sel:DWORD dst_unused:UNUSED_PAD src0_sel:DWORD src1_sel:WORD_1
	v_fma_f16 v71, v15, v63, -v71
	v_mul_f16_sdwa v15, v15, v63 dst_sel:DWORD dst_unused:UNUSED_PAD src0_sel:DWORD src1_sel:WORD_1
	v_fma_f16 v15, v73, v63, v15
	v_mul_f16_sdwa v73, v78, v64 dst_sel:DWORD dst_unused:UNUSED_PAD src0_sel:DWORD src1_sel:WORD_1
	v_fma_f16 v73, v12, v64, -v73
	v_mul_f16_sdwa v12, v12, v64 dst_sel:DWORD dst_unused:UNUSED_PAD src0_sel:DWORD src1_sel:WORD_1
	v_fma_f16 v12, v78, v64, v12
	;; [unrolled: 4-line block ×3, first 2 shown]
	v_sub_f16_e32 v90, v7, v71
	v_sub_f16_e32 v15, v72, v15
	v_mul_f16_sdwa v80, v82, v66 dst_sel:DWORD dst_unused:UNUSED_PAD src0_sel:DWORD src1_sel:WORD_1
	v_fma_f16 v80, v10, v66, -v80
	v_mul_f16_sdwa v10, v10, v66 dst_sel:DWORD dst_unused:UNUSED_PAD src0_sel:DWORD src1_sel:WORD_1
	v_fma_f16 v10, v82, v66, v10
	v_mul_f16_sdwa v82, v84, v68 dst_sel:DWORD dst_unused:UNUSED_PAD src0_sel:DWORD src1_sel:WORD_1
	v_fma_f16 v82, v11, v68, -v82
	v_mul_f16_sdwa v11, v11, v68 dst_sel:DWORD dst_unused:UNUSED_PAD src0_sel:DWORD src1_sel:WORD_1
	v_fma_f16 v11, v84, v68, v11
	;; [unrolled: 4-line block ×5, first 2 shown]
	v_sub_f16_e32 v20, v6, v89
	v_sub_f16_e32 v89, v23, v19
	v_mad_legacy_u16 v19, v28, 34, v29
	v_fma_f16 v6, v6, 2.0, -v20
	v_and_b32_e32 v19, 0xff, v19
	v_lshl_add_u32 v71, v19, 2, v56
	v_pack_b32_f16 v6, v6, v34
	v_pack_b32_f16 v14, v20, v14
	ds_write2_b32 v71, v6, v14 offset1:17
	v_mul_u32_u24_e32 v6, 34, v33
	v_fma_f16 v7, v7, 2.0, -v90
	v_fma_f16 v91, v72, 2.0, -v15
	v_add_u32_sdwa v6, v6, v32 dst_sel:DWORD dst_unused:UNUSED_PAD src0_sel:DWORD src1_sel:BYTE_0
	v_lshl_add_u32 v72, v6, 2, v56
	v_pack_b32_f16 v6, v7, v91
	v_pack_b32_f16 v7, v90, v15
	v_sub_f16_e32 v92, v4, v73
	v_sub_f16_e32 v12, v75, v12
	ds_write2_b32 v72, v6, v7 offset1:17
	v_mul_u32_u24_e32 v6, 34, v36
	v_fma_f16 v4, v4, 2.0, -v92
	v_fma_f16 v75, v75, 2.0, -v12
	v_add_u32_sdwa v6, v6, v35 dst_sel:DWORD dst_unused:UNUSED_PAD src0_sel:DWORD src1_sel:BYTE_0
	v_sub_f16_e32 v78, v5, v78
	v_sub_f16_e32 v13, v79, v13
	v_lshl_add_u32 v73, v6, 2, v56
	v_pack_b32_f16 v4, v4, v75
	v_pack_b32_f16 v6, v92, v12
	v_fma_f16 v5, v5, 2.0, -v78
	v_fma_f16 v79, v79, 2.0, -v13
	ds_write2_b32 v73, v4, v6 offset1:17
	v_mad_legacy_u16 v4, v74, 34, v21
	v_sub_f16_e32 v80, v2, v80
	v_sub_f16_e32 v10, v81, v10
	v_lshl_add_u32 v74, v4, 2, v56
	v_pack_b32_f16 v4, v5, v79
	v_pack_b32_f16 v5, v78, v13
	v_fma_f16 v2, v2, 2.0, -v80
	v_fma_f16 v81, v81, 2.0, -v10
	ds_write2_b32 v74, v4, v5 offset1:17
	v_mad_legacy_u16 v4, v31, 34, v22
	;; [unrolled: 9-line block ×5, first 2 shown]
	v_sub_f16_e32 v88, v24, v88
	v_lshl_add_u32 v78, v0, 2, v56
	v_pack_b32_f16 v0, v1, v87
	v_pack_b32_f16 v1, v86, v9
	ds_write2_b32 v78, v0, v1 offset1:17
	s_and_saveexec_b64 s[4:5], s[2:3]
	s_cbranch_execz .LBB0_5
; %bb.4:
	v_fma_f16 v0, v24, 2.0, -v88
	v_fma_f16 v1, v23, 2.0, -v89
	v_mad_legacy_u16 v2, v60, 34, v61
	s_mov_b32 s12, 0x5040100
	v_lshl_add_u32 v2, v2, 2, v56
	v_pack_b32_f16 v0, v0, v1
	v_perm_b32 v1, v89, v88, s12
	ds_write2_b32 v2, v0, v1 offset1:17
.LBB0_5:
	s_or_b64 exec, exec, s[4:5]
	s_movk_i32 s4, 0xffde
	v_add_co_u32_e32 v19, vcc, s4, v53
	v_addc_co_u32_e64 v20, s[4:5], 0, -1, vcc
	v_cndmask_b32_e64 v22, v20, 0, s[2:3]
	v_cndmask_b32_e64 v21, v19, v53, s[2:3]
	v_lshlrev_b64 v[0:1], 6, v[21:22]
	v_mov_b32_e32 v2, s15
	v_add_co_u32_e32 v22, vcc, s14, v0
	v_addc_co_u32_e32 v23, vcc, v2, v1, vcc
	s_waitcnt lgkmcnt(0)
	s_barrier
	global_load_dwordx4 v[0:3], v[22:23], off offset:68
	global_load_dwordx4 v[4:7], v[22:23], off offset:84
	;; [unrolled: 1-line block ×4, first 2 shown]
	ds_read2_b32 v[34:35], v37 offset1:68
	ds_read2_b32 v[24:25], v37 offset0:136 offset1:204
	v_add_u32_e32 v90, 0x400, v37
	v_add_u32_e32 v23, 0x800, v37
	v_add_u32_e32 v22, 0xc00, v37
	ds_read_b32 v36, v37 offset:4352
	ds_read2_b32 v[26:27], v90 offset0:16 offset1:84
	ds_read2_b32 v[28:29], v90 offset0:152 offset1:220
	;; [unrolled: 1-line block ×6, first 2 shown]
	s_waitcnt lgkmcnt(8)
	v_lshrrev_b32_e32 v30, 16, v35
	s_waitcnt lgkmcnt(7)
	v_lshrrev_b32_e32 v31, 16, v24
	v_lshrrev_b32_e32 v85, 16, v25
	s_waitcnt lgkmcnt(5)
	v_lshrrev_b32_e32 v87, 16, v26
	s_waitcnt lgkmcnt(3)
	;; [unrolled: 2-line block ×3, first 2 shown]
	v_lshrrev_b32_e32 v96, 16, v79
	v_lshrrev_b32_e32 v97, 16, v80
	s_waitcnt lgkmcnt(1)
	v_lshrrev_b32_e32 v98, 16, v81
	v_lshrrev_b32_e32 v93, 16, v29
	v_lshrrev_b32_e32 v91, 16, v27
	v_lshrrev_b32_e32 v99, 16, v82
	s_waitcnt lgkmcnt(0)
	v_lshrrev_b32_e32 v100, 16, v83
	v_lshrrev_b32_e32 v95, 16, v33
	;; [unrolled: 1-line block ×5, first 2 shown]
	s_movk_i32 s17, 0x3b76
	s_movk_i32 s12, 0x39e9
	;; [unrolled: 1-line block ×4, first 2 shown]
	s_mov_b32 s16, 0xb461
	s_mov_b32 s18, 0xb8d2
	s_mov_b32 s19, 0xbacd
	s_mov_b32 s20, 0xbbdd
	v_cmp_lt_u16_e32 vcc, 33, v53
	s_waitcnt vmcnt(0)
	s_barrier
	v_mul_f16_sdwa v102, v30, v0 dst_sel:DWORD dst_unused:UNUSED_PAD src0_sel:DWORD src1_sel:WORD_1
	v_mul_f16_sdwa v103, v35, v0 dst_sel:DWORD dst_unused:UNUSED_PAD src0_sel:DWORD src1_sel:WORD_1
	;; [unrolled: 1-line block ×9, first 2 shown]
	v_fma_f16 v35, v35, v0, -v102
	v_fma_f16 v102, v30, v0, v103
	v_fma_f16 v103, v24, v1, -v104
	v_mul_f16_sdwa v24, v80, v10 dst_sel:DWORD dst_unused:UNUSED_PAD src0_sel:DWORD src1_sel:WORD_1
	v_mul_f16_sdwa v109, v26, v3 dst_sel:DWORD dst_unused:UNUSED_PAD src0_sel:DWORD src1_sel:WORD_1
	;; [unrolled: 1-line block ×5, first 2 shown]
	v_fma_f16 v104, v31, v1, v105
	v_fma_f16 v105, v25, v2, -v106
	v_fma_f16 v106, v26, v3, -v108
	;; [unrolled: 1-line block ×5, first 2 shown]
	v_fma_f16 v80, v97, v10, v24
	v_mul_f16_sdwa v24, v98, v11 dst_sel:DWORD dst_unused:UNUSED_PAD src0_sel:DWORD src1_sel:WORD_1
	v_mul_f16_sdwa v114, v93, v6 dst_sel:DWORD dst_unused:UNUSED_PAD src0_sel:DWORD src1_sel:WORD_1
	v_fma_f16 v31, v93, v6, v115
	v_fma_f16 v93, v81, v11, -v24
	v_mul_f16_sdwa v24, v81, v11 dst_sel:DWORD dst_unused:UNUSED_PAD src0_sel:DWORD src1_sel:WORD_1
	v_mul_f16_sdwa v107, v25, v2 dst_sel:DWORD dst_unused:UNUSED_PAD src0_sel:DWORD src1_sel:WORD_1
	;; [unrolled: 1-line block ×3, first 2 shown]
	v_fma_f16 v81, v98, v11, v24
	v_mul_f16_sdwa v24, v99, v12 dst_sel:DWORD dst_unused:UNUSED_PAD src0_sel:DWORD src1_sel:WORD_1
	v_mul_f16_sdwa v111, v27, v4 dst_sel:DWORD dst_unused:UNUSED_PAD src0_sel:DWORD src1_sel:WORD_1
	v_fma_f16 v85, v85, v2, v107
	v_fma_f16 v107, v27, v4, -v110
	v_fma_f16 v27, v94, v7, v117
	v_fma_f16 v94, v82, v12, -v24
	v_mul_f16_sdwa v24, v82, v12 dst_sel:DWORD dst_unused:UNUSED_PAD src0_sel:DWORD src1_sel:WORD_1
	v_mul_f16_sdwa v119, v33, v8 dst_sel:DWORD dst_unused:UNUSED_PAD src0_sel:DWORD src1_sel:WORD_1
	v_fma_f16 v82, v99, v12, v24
	v_mul_f16_sdwa v24, v100, v13 dst_sel:DWORD dst_unused:UNUSED_PAD src0_sel:DWORD src1_sel:WORD_1
	v_mul_f16_sdwa v118, v95, v8 dst_sel:DWORD dst_unused:UNUSED_PAD src0_sel:DWORD src1_sel:WORD_1
	v_fma_f16 v30, v29, v6, -v114
	v_fma_f16 v29, v95, v8, v119
	v_fma_f16 v95, v83, v13, -v24
	v_mul_f16_sdwa v24, v83, v13 dst_sel:DWORD dst_unused:UNUSED_PAD src0_sel:DWORD src1_sel:WORD_1
	v_mul_f16_sdwa v112, v92, v5 dst_sel:DWORD dst_unused:UNUSED_PAD src0_sel:DWORD src1_sel:WORD_1
	v_fma_f16 v83, v100, v13, v24
	v_mul_f16_sdwa v24, v101, v14 dst_sel:DWORD dst_unused:UNUSED_PAD src0_sel:DWORD src1_sel:WORD_1
	v_mul_f16_sdwa v113, v28, v5 dst_sel:DWORD dst_unused:UNUSED_PAD src0_sel:DWORD src1_sel:WORD_1
	v_fma_f16 v108, v28, v5, -v112
	v_fma_f16 v28, v33, v8, -v118
	v_fma_f16 v33, v96, v9, v121
	v_fma_f16 v96, v84, v14, -v24
	v_mul_f16_sdwa v24, v84, v14 dst_sel:DWORD dst_unused:UNUSED_PAD src0_sel:DWORD src1_sel:WORD_1
	v_fma_f16 v84, v101, v14, v24
	v_mul_f16_sdwa v24, v86, v15 dst_sel:DWORD dst_unused:UNUSED_PAD src0_sel:DWORD src1_sel:WORD_1
	v_fma_f16 v97, v36, v15, -v24
	v_mul_f16_sdwa v24, v36, v15 dst_sel:DWORD dst_unused:UNUSED_PAD src0_sel:DWORD src1_sel:WORD_1
	v_add_f16_sdwa v25, v34, v102 dst_sel:DWORD dst_unused:UNUSED_PAD src0_sel:WORD_1 src1_sel:DWORD
	v_fma_f16 v36, v86, v15, v24
	v_add_f16_e32 v24, v34, v35
	v_add_f16_e32 v25, v25, v104
	v_fma_f16 v87, v87, v3, v109
	v_add_f16_e32 v24, v24, v103
	v_add_f16_e32 v25, v25, v85
	;; [unrolled: 3-line block ×4, first 2 shown]
	v_add_f16_e32 v24, v24, v107
	v_add_f16_e32 v25, v25, v92
	v_add_f16_e32 v24, v24, v108
	v_add_f16_e32 v25, v25, v31
	v_add_f16_e32 v24, v24, v30
	v_add_f16_e32 v25, v25, v27
	v_add_f16_e32 v24, v24, v26
	v_add_f16_e32 v25, v25, v29
	v_add_f16_e32 v24, v24, v28
	v_add_f16_e32 v25, v25, v33
	v_add_f16_e32 v24, v24, v32
	v_add_f16_e32 v25, v25, v80
	v_add_f16_e32 v24, v24, v79
	v_add_f16_e32 v25, v25, v81
	v_add_f16_e32 v24, v24, v93
	v_add_f16_e32 v25, v25, v82
	v_add_f16_e32 v24, v24, v94
	v_add_f16_e32 v25, v25, v83
	v_add_f16_e32 v24, v24, v95
	v_add_f16_e32 v25, v25, v84
	v_add_f16_e32 v24, v24, v96
	v_add_f16_e32 v25, v25, v36
	v_add_f16_e32 v86, v35, v97
	v_add_f16_e32 v98, v102, v36
	v_sub_f16_e32 v35, v35, v97
	v_sub_f16_e32 v36, v102, v36
	v_add_f16_e32 v24, v24, v97
	v_mul_f16_e32 v97, 0xb5c8, v36
	v_mul_f16_e32 v100, 0xb5c8, v35
	;; [unrolled: 1-line block ×16, first 2 shown]
	v_fma_f16 v99, v86, s17, -v97
	v_fma_f16 v101, v98, s17, v100
	v_fma_f16 v97, v86, s17, v97
	v_fma_f16 v100, v98, s17, -v100
	v_fma_f16 v109, v86, s12, -v102
	v_fma_f16 v111, v98, s12, v110
	v_fma_f16 v102, v86, s12, v102
	v_fma_f16 v110, v98, s12, -v110
	;; [unrolled: 4-line block ×8, first 2 shown]
	v_add_f16_e32 v86, v104, v84
	v_sub_f16_e32 v84, v104, v84
	v_add_f16_e32 v99, v34, v99
	v_add_f16_sdwa v101, v34, v101 dst_sel:DWORD dst_unused:UNUSED_PAD src0_sel:WORD_1 src1_sel:DWORD
	v_add_f16_e32 v97, v34, v97
	v_add_f16_sdwa v100, v34, v100 dst_sel:DWORD dst_unused:UNUSED_PAD src0_sel:WORD_1 src1_sel:DWORD
	;; [unrolled: 2-line block ×16, first 2 shown]
	v_add_f16_e32 v35, v103, v96
	v_mul_f16_e32 v98, 0xb964, v84
	v_sub_f16_e32 v96, v103, v96
	v_fma_f16 v103, v35, s12, -v98
	v_add_f16_e32 v99, v103, v99
	v_mul_f16_e32 v103, 0xb964, v96
	v_fma_f16 v98, v35, s12, v98
	v_add_f16_e32 v97, v98, v97
	v_fma_f16 v98, v86, s12, -v103
	v_fma_f16 v104, v86, s12, v103
	v_add_f16_e32 v98, v98, v100
	v_mul_f16_e32 v100, 0xbbf7, v84
	v_add_f16_e32 v101, v104, v101
	v_fma_f16 v103, v35, s4, -v100
	v_mul_f16_e32 v104, 0xbbf7, v96
	v_fma_f16 v100, v35, s4, v100
	v_add_f16_e32 v103, v103, v109
	v_fma_f16 v109, v86, s4, v104
	v_add_f16_e32 v100, v100, v102
	v_fma_f16 v102, v86, s4, -v104
	v_mul_f16_e32 v104, 0xba62, v84
	v_add_f16_e32 v109, v109, v111
	v_add_f16_e32 v102, v102, v110
	v_fma_f16 v110, v35, s18, -v104
	v_mul_f16_e32 v111, 0xba62, v96
	v_fma_f16 v104, v35, s18, v104
	v_add_f16_e32 v110, v110, v113
	v_fma_f16 v113, v86, s18, v111
	v_add_f16_e32 v104, v104, v112
	v_fma_f16 v111, v86, s18, -v111
	v_mul_f16_e32 v112, 0xb1e1, v84
	v_add_f16_e32 v113, v113, v115
	;; [unrolled: 10-line block ×5, first 2 shown]
	v_fma_f16 v126, v35, s5, -v124
	v_fma_f16 v124, v35, s5, v124
	v_mul_f16_e32 v84, 0x35c8, v84
	v_add_f16_e32 v125, v125, v127
	v_mul_f16_e32 v127, 0x3b29, v96
	v_add_f16_e32 v124, v124, v128
	v_fma_f16 v128, v35, s17, -v84
	v_mul_f16_e32 v96, 0x35c8, v96
	v_fma_f16 v35, v35, s17, v84
	v_add_f16_e32 v126, v126, v129
	v_fma_f16 v129, v86, s5, v127
	v_fma_f16 v127, v86, s5, -v127
	v_add_f16_e32 v35, v35, v36
	v_fma_f16 v36, v86, s17, -v96
	v_add_f16_e32 v84, v85, v83
	v_sub_f16_e32 v83, v85, v83
	v_add_f16_e32 v127, v127, v130
	v_fma_f16 v130, v86, s17, v96
	v_add_f16_e32 v34, v36, v34
	v_add_f16_e32 v36, v105, v95
	v_sub_f16_e32 v86, v105, v95
	v_mul_f16_e32 v85, 0xbb29, v83
	v_fma_f16 v95, v36, s5, -v85
	v_mul_f16_e32 v96, 0xbb29, v86
	v_fma_f16 v85, v36, s5, v85
	v_add_f16_e32 v95, v95, v99
	v_fma_f16 v99, v84, s5, v96
	v_add_f16_e32 v85, v85, v97
	v_fma_f16 v96, v84, s5, -v96
	v_mul_f16_e32 v97, 0xba62, v83
	v_add_f16_e32 v99, v99, v101
	v_add_f16_e32 v96, v96, v98
	v_fma_f16 v98, v36, s18, -v97
	v_mul_f16_e32 v101, 0xba62, v86
	v_fma_f16 v97, v36, s18, v97
	v_add_f16_e32 v98, v98, v103
	v_fma_f16 v103, v84, s18, v101
	v_add_f16_e32 v97, v97, v100
	v_fma_f16 v100, v84, s18, -v101
	v_mul_f16_e32 v101, 0x31e1, v83
	v_add_f16_e32 v100, v100, v102
	v_fma_f16 v102, v36, s20, -v101
	v_mul_f16_e32 v105, 0x31e1, v86
	v_fma_f16 v101, v36, s20, v101
	v_add_f16_e32 v103, v103, v109
	v_fma_f16 v109, v84, s20, v105
	v_add_f16_e32 v101, v101, v104
	v_fma_f16 v104, v84, s20, -v105
	v_mul_f16_e32 v105, 0x3bb2, v83
	v_add_f16_e32 v102, v102, v110
	v_fma_f16 v110, v36, s16, -v105
	v_fma_f16 v105, v36, s16, v105
	v_add_f16_e32 v104, v104, v111
	v_mul_f16_e32 v111, 0x3bb2, v86
	v_add_f16_e32 v105, v105, v112
	v_mul_f16_e32 v112, 0x3964, v83
	v_add_f16_e32 v109, v109, v113
	v_add_f16_e32 v110, v110, v114
	v_fma_f16 v113, v84, s16, v111
	v_fma_f16 v111, v84, s16, -v111
	v_fma_f16 v114, v36, s12, -v112
	v_fma_f16 v112, v36, s12, v112
	v_add_f16_e32 v111, v111, v115
	v_mul_f16_e32 v115, 0x3964, v86
	v_add_f16_e32 v112, v112, v116
	v_mul_f16_e32 v116, 0xb5c8, v83
	v_add_f16_e32 v113, v113, v117
	v_add_f16_e32 v114, v114, v118
	v_fma_f16 v117, v84, s12, v115
	v_fma_f16 v115, v84, s12, -v115
	;; [unrolled: 10-line block ×3, first 2 shown]
	v_fma_f16 v122, v36, s4, -v120
	v_fma_f16 v120, v36, s4, v120
	v_mul_f16_e32 v83, 0xb836, v83
	v_add_f16_e32 v119, v119, v123
	v_mul_f16_e32 v123, 0xbbf7, v86
	v_add_f16_e32 v120, v120, v124
	v_fma_f16 v124, v36, s19, -v83
	v_mul_f16_e32 v86, 0xb836, v86
	v_fma_f16 v36, v36, s19, v83
	v_add_f16_e32 v35, v36, v35
	v_fma_f16 v36, v84, s19, -v86
	v_add_f16_e32 v83, v87, v82
	v_sub_f16_e32 v82, v87, v82
	v_add_f16_e32 v121, v121, v125
	v_add_f16_e32 v122, v122, v126
	v_fma_f16 v125, v84, s4, v123
	v_fma_f16 v123, v84, s4, -v123
	v_fma_f16 v126, v84, s19, v86
	v_add_f16_e32 v34, v36, v34
	v_add_f16_e32 v36, v106, v94
	v_sub_f16_e32 v84, v106, v94
	v_mul_f16_e32 v86, 0xbbf7, v82
	v_fma_f16 v87, v36, s4, -v86
	v_mul_f16_e32 v94, 0xbbf7, v84
	v_fma_f16 v86, v36, s4, v86
	v_add_f16_e32 v87, v87, v95
	v_fma_f16 v95, v83, s4, v94
	v_add_f16_e32 v85, v86, v85
	v_fma_f16 v86, v83, s4, -v94
	v_mul_f16_e32 v94, 0xb1e1, v82
	v_add_f16_e32 v86, v86, v96
	v_fma_f16 v96, v36, s20, -v94
	v_add_f16_e32 v96, v96, v98
	v_mul_f16_e32 v98, 0xb1e1, v84
	v_fma_f16 v94, v36, s20, v94
	v_add_f16_e32 v95, v95, v99
	v_fma_f16 v99, v83, s20, v98
	v_add_f16_e32 v94, v94, v97
	v_fma_f16 v97, v83, s20, -v98
	v_mul_f16_e32 v98, 0x3bb2, v82
	v_add_f16_e32 v97, v97, v100
	v_fma_f16 v100, v36, s16, -v98
	v_add_f16_e32 v100, v100, v102
	v_mul_f16_e32 v102, 0x3bb2, v84
	v_fma_f16 v98, v36, s16, v98
	v_add_f16_e32 v99, v99, v103
	v_fma_f16 v103, v83, s16, v102
	v_add_f16_e32 v98, v98, v101
	v_fma_f16 v101, v83, s16, -v102
	v_mul_f16_e32 v102, 0x35c8, v82
	v_add_f16_e32 v101, v101, v104
	v_fma_f16 v104, v36, s17, -v102
	v_mul_f16_e32 v106, 0x35c8, v84
	v_fma_f16 v102, v36, s17, v102
	v_add_f16_e32 v103, v103, v109
	v_fma_f16 v109, v83, s17, v106
	v_add_f16_e32 v102, v102, v105
	v_fma_f16 v105, v83, s17, -v106
	v_mul_f16_e32 v106, 0xbb29, v82
	v_add_f16_e32 v104, v104, v110
	v_fma_f16 v110, v36, s5, -v106
	v_fma_f16 v106, v36, s5, v106
	v_add_f16_e32 v105, v105, v111
	v_mul_f16_e32 v111, 0xbb29, v84
	v_add_f16_e32 v106, v106, v112
	v_mul_f16_e32 v112, 0xb836, v82
	v_add_f16_e32 v109, v109, v113
	v_add_f16_e32 v110, v110, v114
	v_fma_f16 v113, v83, s5, v111
	v_fma_f16 v111, v83, s5, -v111
	v_fma_f16 v114, v36, s19, -v112
	v_fma_f16 v112, v36, s19, v112
	v_add_f16_e32 v111, v111, v115
	v_mul_f16_e32 v115, 0xb836, v84
	v_add_f16_e32 v112, v112, v116
	v_mul_f16_e32 v116, 0x3a62, v82
	v_add_f16_e32 v113, v113, v117
	v_add_f16_e32 v114, v114, v118
	v_fma_f16 v117, v83, s19, v115
	v_fma_f16 v115, v83, s19, -v115
	v_fma_f16 v118, v36, s18, -v116
	v_fma_f16 v116, v36, s18, v116
	v_mul_f16_e32 v82, 0x3964, v82
	v_add_f16_e32 v115, v115, v119
	v_mul_f16_e32 v119, 0x3a62, v84
	v_add_f16_e32 v116, v116, v120
	v_fma_f16 v120, v36, s12, -v82
	v_mul_f16_e32 v84, 0x3964, v84
	v_fma_f16 v36, v36, s12, v82
	v_add_f16_e32 v35, v36, v35
	v_fma_f16 v36, v83, s12, -v84
	v_add_f16_e32 v82, v91, v81
	v_sub_f16_e32 v81, v91, v81
	v_add_f16_e32 v118, v118, v122
	v_fma_f16 v122, v83, s12, v84
	v_add_f16_e32 v34, v36, v34
	v_add_f16_e32 v36, v107, v93
	v_mul_f16_e32 v84, 0xbbb2, v81
	v_add_f16_e32 v117, v117, v121
	v_fma_f16 v121, v83, s18, v119
	v_fma_f16 v119, v83, s18, -v119
	v_sub_f16_e32 v83, v107, v93
	v_fma_f16 v91, v36, s16, -v84
	v_add_f16_e32 v87, v91, v87
	v_mul_f16_e32 v91, 0xbbb2, v83
	v_fma_f16 v84, v36, s16, v84
	v_add_f16_e32 v84, v84, v85
	v_fma_f16 v85, v82, s16, -v91
	v_fma_f16 v93, v82, s16, v91
	v_add_f16_e32 v85, v85, v86
	v_mul_f16_e32 v86, 0x3836, v81
	v_add_f16_e32 v93, v93, v95
	v_fma_f16 v91, v36, s19, -v86
	v_mul_f16_e32 v95, 0x3836, v83
	v_fma_f16 v86, v36, s19, v86
	v_add_f16_e32 v91, v91, v96
	v_fma_f16 v96, v82, s19, v95
	v_add_f16_e32 v86, v86, v94
	v_fma_f16 v94, v82, s19, -v95
	v_mul_f16_e32 v95, 0x3964, v81
	v_add_f16_e32 v96, v96, v99
	v_add_f16_e32 v94, v94, v97
	v_fma_f16 v97, v36, s12, -v95
	v_mul_f16_e32 v99, 0x3964, v83
	v_fma_f16 v95, v36, s12, v95
	v_add_f16_e32 v97, v97, v100
	v_fma_f16 v100, v82, s12, v99
	v_add_f16_e32 v95, v95, v98
	v_fma_f16 v98, v82, s12, -v99
	v_mul_f16_e32 v99, 0xbb29, v81
	v_add_f16_e32 v100, v100, v103
	;; [unrolled: 10-line block ×3, first 2 shown]
	v_fma_f16 v105, v36, s20, -v103
	v_mul_f16_e32 v107, 0xb1e1, v83
	v_fma_f16 v103, v36, s20, v103
	v_add_f16_e32 v104, v104, v109
	v_fma_f16 v109, v82, s20, v107
	v_add_f16_e32 v103, v103, v106
	v_fma_f16 v106, v82, s20, -v107
	v_mul_f16_e32 v107, 0x3bf7, v81
	v_add_f16_e32 v105, v105, v110
	v_fma_f16 v110, v36, s4, -v107
	v_fma_f16 v107, v36, s4, v107
	v_add_f16_e32 v106, v106, v111
	v_mul_f16_e32 v111, 0x3bf7, v83
	v_add_f16_e32 v107, v107, v112
	v_mul_f16_e32 v112, 0xb5c8, v81
	v_add_f16_e32 v109, v109, v113
	v_add_f16_e32 v110, v110, v114
	v_fma_f16 v113, v82, s4, v111
	v_fma_f16 v111, v82, s4, -v111
	v_fma_f16 v114, v36, s17, -v112
	v_fma_f16 v112, v36, s17, v112
	v_mul_f16_e32 v81, 0xba62, v81
	v_add_f16_e32 v111, v111, v115
	v_mul_f16_e32 v115, 0xb5c8, v83
	v_add_f16_e32 v112, v112, v116
	v_fma_f16 v116, v36, s18, -v81
	v_mul_f16_e32 v83, 0xba62, v83
	v_fma_f16 v36, v36, s18, v81
	v_add_f16_e32 v35, v36, v35
	v_fma_f16 v36, v82, s18, -v83
	v_add_f16_e32 v81, v92, v80
	v_sub_f16_e32 v80, v92, v80
	v_add_f16_e32 v113, v113, v117
	v_add_f16_e32 v114, v114, v118
	v_fma_f16 v117, v82, s17, v115
	v_fma_f16 v115, v82, s17, -v115
	v_fma_f16 v118, v82, s18, v83
	v_add_f16_e32 v34, v36, v34
	v_add_f16_e32 v36, v108, v79
	v_mul_f16_e32 v82, 0xba62, v80
	v_sub_f16_e32 v79, v108, v79
	v_fma_f16 v83, v36, s18, -v82
	v_add_f16_e32 v83, v83, v87
	v_mul_f16_e32 v87, 0xba62, v79
	v_fma_f16 v82, v36, s18, v82
	v_add_f16_e32 v82, v82, v84
	v_fma_f16 v84, v81, s18, -v87
	v_add_f16_e32 v84, v84, v85
	v_mul_f16_e32 v85, 0x3bb2, v80
	v_fma_f16 v92, v81, s18, v87
	v_fma_f16 v87, v36, s16, -v85
	v_add_f16_e32 v87, v87, v91
	v_mul_f16_e32 v91, 0x3bb2, v79
	v_fma_f16 v85, v36, s16, v85
	v_add_f16_e32 v92, v92, v93
	v_fma_f16 v93, v81, s16, v91
	v_add_f16_e32 v85, v85, v86
	v_fma_f16 v86, v81, s16, -v91
	v_mul_f16_e32 v91, 0xb5c8, v80
	v_add_f16_e32 v93, v93, v96
	v_add_f16_e32 v86, v86, v94
	v_fma_f16 v94, v36, s17, -v91
	v_mul_f16_e32 v96, 0xb5c8, v79
	v_fma_f16 v91, v36, s17, v91
	v_add_f16_e32 v94, v94, v97
	v_fma_f16 v97, v81, s17, v96
	v_add_f16_e32 v91, v91, v95
	v_fma_f16 v95, v81, s17, -v96
	v_mul_f16_e32 v96, 0xb836, v80
	v_add_f16_e32 v97, v97, v100
	v_add_f16_e32 v95, v95, v98
	v_fma_f16 v98, v36, s19, -v96
	;; [unrolled: 10-line block ×3, first 2 shown]
	v_mul_f16_e32 v104, 0x3bf7, v79
	v_fma_f16 v100, v36, s4, v100
	v_add_f16_e32 v102, v102, v105
	v_fma_f16 v105, v81, s4, v104
	v_add_f16_e32 v100, v100, v103
	v_fma_f16 v103, v81, s4, -v104
	v_mul_f16_e32 v104, 0xb964, v80
	v_add_f16_e32 v103, v103, v106
	v_fma_f16 v106, v36, s12, -v104
	v_mul_f16_e32 v108, 0xb964, v79
	v_fma_f16 v104, v36, s12, v104
	v_add_f16_e32 v105, v105, v109
	v_fma_f16 v109, v81, s12, v108
	v_add_f16_e32 v104, v104, v107
	v_fma_f16 v107, v81, s12, -v108
	v_mul_f16_e32 v108, 0xb1e1, v80
	v_add_f16_e32 v106, v106, v110
	v_fma_f16 v110, v36, s20, -v108
	v_fma_f16 v108, v36, s20, v108
	v_mul_f16_e32 v80, 0x3b29, v80
	v_add_f16_e32 v107, v107, v111
	v_mul_f16_e32 v111, 0xb1e1, v79
	v_add_f16_e32 v108, v108, v112
	v_fma_f16 v112, v36, s5, -v80
	v_mul_f16_e32 v79, 0x3b29, v79
	v_fma_f16 v36, v36, s5, v80
	v_add_f16_e32 v110, v110, v114
	v_fma_f16 v114, v81, s5, v79
	v_add_f16_e32 v35, v36, v35
	v_fma_f16 v36, v81, s5, -v79
	v_add_f16_e32 v79, v31, v33
	v_sub_f16_e32 v31, v31, v33
	v_add_f16_e32 v34, v36, v34
	v_add_f16_e32 v36, v30, v32
	v_sub_f16_e32 v30, v30, v32
	v_mul_f16_e32 v32, 0xb836, v31
	v_fma_f16 v33, v36, s19, -v32
	v_mul_f16_e32 v80, 0xb836, v30
	v_fma_f16 v32, v36, s19, v32
	v_add_f16_e32 v109, v109, v113
	v_fma_f16 v113, v81, s20, v111
	v_fma_f16 v111, v81, s20, -v111
	v_fma_f16 v81, v79, s19, v80
	v_add_f16_e32 v32, v32, v82
	v_fma_f16 v80, v79, s19, -v80
	v_mul_f16_e32 v82, 0x3b29, v31
	v_add_f16_e32 v33, v33, v83
	v_add_f16_e32 v80, v80, v84
	v_fma_f16 v83, v36, s5, -v82
	v_mul_f16_e32 v84, 0x3b29, v30
	v_fma_f16 v82, v36, s5, v82
	v_add_f16_e32 v83, v83, v87
	v_fma_f16 v87, v79, s5, v84
	v_add_f16_e32 v82, v82, v85
	v_fma_f16 v84, v79, s5, -v84
	v_mul_f16_e32 v85, 0xbbf7, v31
	v_add_f16_e32 v81, v81, v92
	v_add_f16_e32 v84, v84, v86
	v_fma_f16 v86, v36, s4, -v85
	v_mul_f16_e32 v92, 0xbbf7, v30
	v_fma_f16 v85, v36, s4, v85
	v_add_f16_e32 v85, v85, v91
	v_fma_f16 v91, v79, s4, -v92
	v_add_f16_e32 v86, v86, v94
	v_add_f16_e32 v94, v91, v95
	v_mul_f16_e32 v91, 0x3a62, v31
	v_add_f16_e32 v87, v87, v93
	v_fma_f16 v93, v79, s4, v92
	v_fma_f16 v92, v36, s18, -v91
	v_add_f16_e32 v95, v92, v98
	v_mul_f16_e32 v92, 0x3a62, v30
	v_fma_f16 v91, v36, s18, v91
	v_add_f16_e32 v96, v91, v96
	v_fma_f16 v91, v79, s18, -v92
	v_add_f16_e32 v98, v91, v99
	v_mul_f16_e32 v91, 0xb5c8, v31
	v_add_f16_e32 v93, v93, v97
	v_fma_f16 v97, v79, s18, v92
	v_fma_f16 v92, v36, s17, -v91
	v_add_f16_e32 v99, v92, v102
	v_mul_f16_e32 v92, 0xb5c8, v30
	v_fma_f16 v91, v36, s17, v91
	v_add_f16_e32 v100, v91, v100
	v_fma_f16 v91, v79, s17, -v92
	;; [unrolled: 10-line block ×3, first 2 shown]
	v_add_f16_e32 v128, v128, v132
	v_add_f16_e32 v123, v123, v127
	;; [unrolled: 1-line block ×3, first 2 shown]
	v_mul_f16_e32 v91, 0x3964, v31
	v_add_f16_e32 v124, v124, v128
	v_add_f16_e32 v119, v119, v123
	;; [unrolled: 1-line block ×3, first 2 shown]
	v_fma_f16 v105, v79, s20, v92
	v_fma_f16 v92, v36, s12, -v91
	v_add_f16_e32 v120, v120, v124
	v_add_f16_e32 v115, v115, v119
	;; [unrolled: 1-line block ×3, first 2 shown]
	v_mul_f16_e32 v92, 0x3964, v30
	v_fma_f16 v91, v36, s12, v91
	v_add_f16_e32 v116, v116, v120
	v_add_f16_e32 v111, v111, v115
	;; [unrolled: 1-line block ×3, first 2 shown]
	v_fma_f16 v91, v79, s12, -v92
	v_mul_f16_e32 v31, 0xbbb2, v31
	v_add_f16_e32 v130, v130, v133
	v_add_f16_e32 v112, v112, v116
	;; [unrolled: 1-line block ×3, first 2 shown]
	v_fma_f16 v91, v36, s16, -v31
	v_mul_f16_e32 v30, 0xbbb2, v30
	v_fma_f16 v31, v36, s16, v31
	v_add_f16_e32 v126, v126, v130
	v_add_f16_e32 v111, v91, v112
	v_fma_f16 v91, v79, s16, v30
	v_add_f16_e32 v31, v31, v35
	v_fma_f16 v30, v79, s16, -v30
	v_add_f16_e32 v35, v27, v29
	v_sub_f16_e32 v27, v27, v29
	v_add_f16_e32 v122, v122, v126
	v_add_f16_e32 v30, v30, v34
	;; [unrolled: 1-line block ×3, first 2 shown]
	v_sub_f16_e32 v26, v26, v28
	v_mul_f16_e32 v28, 0xb1e1, v27
	v_add_f16_e32 v118, v118, v122
	v_fma_f16 v29, v34, s20, -v28
	v_add_f16_e32 v114, v114, v118
	v_add_f16_e32 v29, v29, v33
	v_mul_f16_e32 v33, 0xb1e1, v26
	v_fma_f16 v28, v34, s20, v28
	v_add_f16_e32 v112, v91, v114
	v_fma_f16 v36, v35, s20, v33
	v_add_f16_e32 v91, v28, v32
	v_fma_f16 v28, v35, s20, -v33
	v_mul_f16_e32 v33, 0x35c8, v26
	v_add_f16_e32 v105, v105, v109
	v_fma_f16 v109, v79, s12, v92
	v_add_f16_e32 v92, v28, v80
	v_mul_f16_e32 v28, 0x35c8, v27
	v_fma_f16 v79, v35, s17, v33
	v_fma_f16 v32, v34, s17, -v28
	v_add_f16_e32 v80, v79, v87
	v_fma_f16 v28, v34, s17, v28
	v_mul_f16_e32 v79, 0xb836, v27
	v_add_f16_e32 v36, v36, v81
	v_add_f16_e32 v28, v28, v82
	v_fma_f16 v33, v35, s17, -v33
	v_fma_f16 v81, v34, s19, -v79
	v_mul_f16_e32 v82, 0xb836, v26
	v_fma_f16 v79, v34, s19, v79
	v_add_f16_e32 v33, v33, v84
	v_add_f16_e32 v84, v79, v85
	v_fma_f16 v79, v35, s19, -v82
	v_add_f16_e32 v32, v32, v83
	v_fma_f16 v83, v35, s19, v82
	v_add_f16_e32 v82, v79, v94
	v_mul_f16_e32 v79, 0x3964, v27
	v_add_f16_e32 v81, v81, v86
	v_fma_f16 v85, v34, s12, -v79
	v_mul_f16_e32 v86, 0x3964, v26
	v_fma_f16 v79, v34, s12, v79
	v_add_f16_e32 v83, v83, v93
	v_add_f16_e32 v93, v79, v96
	v_fma_f16 v79, v35, s12, -v86
	v_fma_f16 v87, v35, s12, v86
	v_add_f16_e32 v86, v79, v98
	v_mul_f16_e32 v79, 0xba62, v27
	v_add_f16_e32 v85, v85, v95
	v_fma_f16 v94, v34, s18, -v79
	v_mul_f16_e32 v95, 0xba62, v26
	v_fma_f16 v79, v34, s18, v79
	v_add_f16_e32 v87, v87, v97
	v_add_f16_e32 v97, v79, v100
	v_fma_f16 v79, v35, s18, -v95
	;; [unrolled: 10-line block ×4, first 2 shown]
	v_mul_f16_e32 v27, 0x3bf7, v27
	v_fma_f16 v104, v35, s16, v103
	v_add_f16_e32 v103, v79, v110
	v_fma_f16 v79, v34, s4, -v27
	v_mul_f16_e32 v26, 0x3bf7, v26
	v_add_f16_e32 v129, v129, v131
	v_add_f16_e32 v106, v79, v111
	v_fma_f16 v79, v35, s4, v26
	v_fma_f16 v26, v35, s4, -v26
	v_add_f16_e32 v125, v125, v129
	v_add_f16_e32 v26, v26, v30
	v_mov_b32_e32 v30, 0x242
	v_add_f16_e32 v121, v121, v125
	v_cndmask_b32_e32 v30, 0, v30, vcc
	v_add_f16_e32 v117, v117, v121
	v_add_u32_e32 v21, v21, v30
	v_add_f16_e32 v113, v113, v117
	v_add_f16_e32 v102, v102, v107
	;; [unrolled: 1-line block ×3, first 2 shown]
	v_lshl_add_u32 v79, v21, 2, v56
	v_pack_b32_f16 v21, v24, v25
	v_pack_b32_f16 v24, v29, v36
	v_add_f16_e32 v109, v109, v113
	ds_write2_b32 v79, v21, v24 offset1:34
	v_pack_b32_f16 v21, v32, v80
	v_pack_b32_f16 v24, v81, v83
	v_add_f16_e32 v104, v104, v109
	v_fma_f16 v27, v34, s4, v27
	ds_write2_b32 v79, v21, v24 offset0:68 offset1:102
	v_pack_b32_f16 v21, v85, v87
	v_pack_b32_f16 v24, v94, v96
	v_add_f16_e32 v27, v27, v31
	ds_write2_b32 v79, v21, v24 offset0:136 offset1:170
	v_pack_b32_f16 v21, v98, v100
	v_pack_b32_f16 v24, v102, v104
	ds_write2_b32 v79, v21, v24 offset0:204 offset1:238
	v_pack_b32_f16 v21, v106, v107
	v_pack_b32_f16 v24, v27, v26
	v_add_u32_e32 v25, 0x400, v79
	ds_write2_b32 v25, v21, v24 offset0:16 offset1:50
	v_pack_b32_f16 v21, v105, v103
	v_pack_b32_f16 v24, v101, v99
	ds_write2_b32 v25, v21, v24 offset0:84 offset1:118
	v_pack_b32_f16 v21, v97, v95
	v_pack_b32_f16 v24, v93, v86
	;; [unrolled: 3-line block ×3, first 2 shown]
	ds_write2_b32 v25, v21, v24 offset0:220 offset1:254
	v_pack_b32_f16 v21, v91, v92
	ds_write_b32 v79, v21 offset:2176
	v_add_u32_e32 v21, 0xa00, v37
	s_waitcnt lgkmcnt(0)
	s_barrier
	ds_read2_b32 v[27:28], v37 offset1:68
	ds_read2_b32 v[31:32], v23 offset0:66 offset1:134
	ds_read2_b32 v[25:26], v37 offset0:136 offset1:204
	;; [unrolled: 1-line block ×6, first 2 shown]
	v_add_u32_e32 v93, 0xe00, v37
	ds_read2_b32 v[29:30], v93 offset0:90 offset1:158
	s_and_saveexec_b64 s[4:5], s[2:3]
	s_cbranch_execz .LBB0_7
; %bb.6:
	ds_read_b32 v91, v37 offset:2176
	ds_read_b32 v88, v37 offset:4488
	v_mov_b32_e32 v20, v18
	v_mov_b32_e32 v19, v17
	s_waitcnt lgkmcnt(1)
	v_lshrrev_b32_e32 v92, 16, v91
	s_waitcnt lgkmcnt(0)
	v_lshrrev_b32_e32 v89, 16, v88
.LBB0_7:
	s_or_b64 exec, exec, s[4:5]
	v_mov_b32_e32 v94, s15
	v_lshlrev_b64 v[17:18], 2, v[19:20]
	v_add_co_u32_e32 v19, vcc, s14, v59
	s_movk_i32 s12, 0x1000
	v_addc_co_u32_e32 v20, vcc, 0, v94, vcc
	v_add_co_u32_e32 v19, vcc, s12, v19
	v_addc_co_u32_e32 v20, vcc, 0, v20, vcc
	v_add_co_u32_e32 v17, vcc, s14, v17
	global_load_dword v80, v59, s[14:15] offset:2244
	global_load_dword v81, v59, s[14:15] offset:2516
	;; [unrolled: 1-line block ×7, first 2 shown]
	global_load_dword v87, v[19:20], off offset:52
	v_addc_co_u32_e32 v18, vcc, v94, v18, vcc
	global_load_dword v59, v[17:18], off offset:2244
	s_waitcnt lgkmcnt(4)
	v_lshrrev_b32_e32 v95, 16, v33
	v_lshrrev_b32_e32 v18, 16, v31
	;; [unrolled: 1-line block ×3, first 2 shown]
	s_waitcnt lgkmcnt(0)
	v_lshrrev_b32_e32 v105, 16, v30
	v_lshrrev_b32_e32 v17, 16, v27
	;; [unrolled: 1-line block ×13, first 2 shown]
	s_waitcnt vmcnt(8)
	v_mul_f16_sdwa v106, v18, v80 dst_sel:DWORD dst_unused:UNUSED_PAD src0_sel:DWORD src1_sel:WORD_1
	v_mul_f16_sdwa v107, v31, v80 dst_sel:DWORD dst_unused:UNUSED_PAD src0_sel:DWORD src1_sel:WORD_1
	s_waitcnt vmcnt(6)
	v_mul_f16_sdwa v110, v95, v82 dst_sel:DWORD dst_unused:UNUSED_PAD src0_sel:DWORD src1_sel:WORD_1
	v_mul_f16_sdwa v108, v20, v81 dst_sel:DWORD dst_unused:UNUSED_PAD src0_sel:DWORD src1_sel:WORD_1
	;; [unrolled: 1-line block ×4, first 2 shown]
	v_fma_f16 v33, v33, v82, -v110
	v_fma_f16 v31, v31, v80, -v106
	v_fma_f16 v18, v18, v80, v107
	v_fma_f16 v32, v32, v81, -v108
	v_fma_f16 v20, v20, v81, v109
	v_sub_f16_e32 v106, v25, v33
	s_waitcnt vmcnt(1)
	v_mul_f16_sdwa v33, v105, v87 dst_sel:DWORD dst_unused:UNUSED_PAD src0_sel:DWORD src1_sel:WORD_1
	v_mul_f16_sdwa v107, v30, v87 dst_sel:DWORD dst_unused:UNUSED_PAD src0_sel:DWORD src1_sel:WORD_1
	v_sub_f16_e32 v31, v27, v31
	v_sub_f16_e32 v18, v17, v18
	;; [unrolled: 1-line block ×4, first 2 shown]
	s_waitcnt vmcnt(0)
	v_mul_f16_sdwa v108, v89, v59 dst_sel:DWORD dst_unused:UNUSED_PAD src0_sel:DWORD src1_sel:WORD_1
	v_fma_f16 v30, v30, v87, -v33
	v_fma_f16 v33, v105, v87, v107
	v_fma_f16 v95, v95, v82, v111
	v_mul_f16_sdwa v109, v88, v59 dst_sel:DWORD dst_unused:UNUSED_PAD src0_sel:DWORD src1_sel:WORD_1
	v_fma_f16 v27, v27, 2.0, -v31
	v_fma_f16 v17, v17, 2.0, -v18
	;; [unrolled: 1-line block ×4, first 2 shown]
	v_fma_f16 v88, v88, v59, -v108
	v_sub_f16_e32 v108, v104, v33
	v_lshl_add_u32 v33, v53, 2, v56
	v_pack_b32_f16 v18, v31, v18
	v_mul_f16_sdwa v112, v97, v83 dst_sel:DWORD dst_unused:UNUSED_PAD src0_sel:DWORD src1_sel:WORD_1
	v_mul_f16_sdwa v113, v34, v83 dst_sel:DWORD dst_unused:UNUSED_PAD src0_sel:DWORD src1_sel:WORD_1
	v_sub_f16_e32 v95, v94, v95
	v_pack_b32_f16 v17, v27, v17
	ds_write_b32 v33, v18 offset:2312
	v_pack_b32_f16 v18, v28, v19
	v_fma_f16 v34, v34, v83, -v112
	v_fma_f16 v97, v97, v83, v113
	v_fma_f16 v25, v25, 2.0, -v106
	v_fma_f16 v94, v94, 2.0, -v95
	ds_write2_b32 v37, v17, v18 offset1:68
	v_pack_b32_f16 v17, v32, v20
	v_mul_f16_sdwa v114, v99, v84 dst_sel:DWORD dst_unused:UNUSED_PAD src0_sel:DWORD src1_sel:WORD_1
	v_mul_f16_sdwa v115, v35, v84 dst_sel:DWORD dst_unused:UNUSED_PAD src0_sel:DWORD src1_sel:WORD_1
	v_sub_f16_e32 v105, v26, v34
	v_sub_f16_e32 v97, v96, v97
	ds_write_b32 v33, v17 offset:2584
	v_pack_b32_f16 v17, v25, v94
	v_fma_f16 v35, v35, v84, -v114
	v_fma_f16 v99, v99, v84, v115
	v_fma_f16 v26, v26, 2.0, -v105
	v_fma_f16 v96, v96, 2.0, -v97
	ds_write_b32 v37, v17 offset:544
	v_pack_b32_f16 v17, v106, v95
	v_mul_f16_sdwa v116, v101, v85 dst_sel:DWORD dst_unused:UNUSED_PAD src0_sel:DWORD src1_sel:WORD_1
	v_mul_f16_sdwa v117, v36, v85 dst_sel:DWORD dst_unused:UNUSED_PAD src0_sel:DWORD src1_sel:WORD_1
	v_sub_f16_e32 v107, v23, v35
	v_sub_f16_e32 v99, v98, v99
	ds_write_b32 v33, v17 offset:2856
	v_pack_b32_f16 v17, v26, v96
	v_fma_f16 v36, v36, v85, -v116
	v_fma_f16 v101, v101, v85, v117
	v_fma_f16 v23, v23, 2.0, -v107
	v_fma_f16 v98, v98, 2.0, -v99
	ds_write_b32 v37, v17 offset:816
	;; [unrolled: 12-line block ×3, first 2 shown]
	v_pack_b32_f16 v17, v107, v99
	v_sub_f16_e32 v29, v21, v29
	v_sub_f16_e32 v103, v102, v103
	;; [unrolled: 1-line block ×3, first 2 shown]
	ds_write_b32 v33, v17 offset:3400
	v_pack_b32_f16 v17, v24, v100
	v_fma_f16 v21, v21, 2.0, -v29
	v_fma_f16 v102, v102, 2.0, -v103
	;; [unrolled: 1-line block ×4, first 2 shown]
	ds_write_b32 v37, v17 offset:1360
	v_pack_b32_f16 v17, v36, v101
	v_fma_f16 v89, v89, v59, v109
	ds_write_b32 v33, v17 offset:3672
	v_pack_b32_f16 v17, v21, v102
	v_pack_b32_f16 v19, v22, v104
	v_sub_f16_e32 v34, v91, v88
	v_sub_f16_e32 v35, v92, v89
	v_pack_b32_f16 v18, v29, v103
	ds_write2_b32 v90, v17, v19 offset0:152 offset1:220
	v_pack_b32_f16 v17, v30, v108
	ds_write2_b32 v93, v18, v17 offset0:90 offset1:158
	s_and_saveexec_b64 s[4:5], s[2:3]
	s_cbranch_execz .LBB0_9
; %bb.8:
	v_fma_f16 v17, v91, 2.0, -v34
	v_fma_f16 v18, v92, 2.0, -v35
	v_pack_b32_f16 v17, v17, v18
	s_mov_b32 s14, 0x5040100
	ds_write_b32 v37, v17 offset:2176
	v_perm_b32 v17, v35, v34, s14
	ds_write_b32 v33, v17 offset:4488
.LBB0_9:
	s_or_b64 exec, exec, s[4:5]
	v_mov_b32_e32 v17, s13
	v_addc_co_u32_e64 v29, vcc, 0, v17, s[0:1]
	v_add_co_u32_e32 v17, vcc, 0x1210, v58
	s_mov_b64 s[0:1], vcc
	v_add_co_u32_e32 v18, vcc, s12, v58
	v_addc_co_u32_e32 v19, vcc, 0, v29, vcc
	s_waitcnt lgkmcnt(0)
	s_barrier
	global_load_dword v30, v[18:19], off offset:528
	v_addc_co_u32_e64 v18, vcc, 0, v29, s[0:1]
	global_load_dword v31, v[17:18], off offset:272
	global_load_dword v32, v[17:18], off offset:544
	;; [unrolled: 1-line block ×9, first 2 shown]
	v_add_u32_e32 v25, 0x400, v37
	ds_read2_b32 v[19:20], v37 offset1:68
	ds_read2_b32 v[21:22], v37 offset0:136 offset1:204
	ds_read2_b32 v[23:24], v25 offset0:16 offset1:84
	;; [unrolled: 1-line block ×3, first 2 shown]
	global_load_dword v94, v[17:18], off offset:2720
	s_movk_i32 s0, 0x2000
	v_add_co_u32_e32 v28, vcc, s0, v58
	v_addc_co_u32_e32 v29, vcc, 0, v29, vcc
	global_load_dword v58, v[17:18], off offset:2992
	global_load_dword v95, v[17:18], off offset:3264
	;; [unrolled: 1-line block ×6, first 2 shown]
	s_waitcnt lgkmcnt(3)
	v_lshrrev_b32_e32 v17, 16, v19
	v_lshrrev_b32_e32 v18, 16, v20
	s_waitcnt lgkmcnt(2)
	v_lshrrev_b32_e32 v29, 16, v22
	v_lshrrev_b32_e32 v28, 16, v21
	;; [unrolled: 3-line block ×3, first 2 shown]
	s_waitcnt lgkmcnt(0)
	v_lshrrev_b32_e32 v102, 16, v26
	s_mov_b32 s24, 0xb5c8
	s_movk_i32 s15, 0x3b76
	s_mov_b32 s0, 0xffff
	s_mov_b32 s22, 0xb964
	s_movk_i32 s13, 0x39e9
	s_mov_b32 s20, 0xbb29
	s_movk_i32 s14, 0x3964
	s_movk_i32 s5, 0x3722
	s_mov_b32 s30, 0xbbf7
	s_movk_i32 s12, 0x3b29
	;; [unrolled: 3-line block ×3, first 2 shown]
	s_mov_b32 s17, 0xb461
	s_mov_b32 s18, 0xba62
	s_movk_i32 s25, 0x3bb2
	s_mov_b32 s19, 0xb8d2
	s_mov_b32 s21, 0xb836
	s_movk_i32 s26, 0x3a62
	s_mov_b32 s23, 0xbacd
	s_movk_i32 s29, 0x3836
	s_mov_b32 s27, 0xb1e1
	s_mov_b32 s28, 0xbbdd
	s_movk_i32 s33, 0x31e1
	s_movk_i32 s31, 0x35c8
	s_waitcnt vmcnt(15)
	v_mul_f16_sdwa v105, v18, v31 dst_sel:DWORD dst_unused:UNUSED_PAD src0_sel:DWORD src1_sel:WORD_1
	v_mul_f16_sdwa v106, v20, v31 dst_sel:DWORD dst_unused:UNUSED_PAD src0_sel:DWORD src1_sel:WORD_1
	s_waitcnt vmcnt(13)
	v_mul_f16_sdwa v109, v29, v36 dst_sel:DWORD dst_unused:UNUSED_PAD src0_sel:DWORD src1_sel:WORD_1
	v_mul_f16_sdwa v110, v22, v36 dst_sel:DWORD dst_unused:UNUSED_PAD src0_sel:DWORD src1_sel:WORD_1
	;; [unrolled: 1-line block ×6, first 2 shown]
	s_waitcnt vmcnt(12)
	v_mul_f16_sdwa v111, v100, v88 dst_sel:DWORD dst_unused:UNUSED_PAD src0_sel:DWORD src1_sel:WORD_1
	v_mul_f16_sdwa v112, v23, v88 dst_sel:DWORD dst_unused:UNUSED_PAD src0_sel:DWORD src1_sel:WORD_1
	s_waitcnt vmcnt(11)
	v_mul_f16_sdwa v113, v101, v89 dst_sel:DWORD dst_unused:UNUSED_PAD src0_sel:DWORD src1_sel:WORD_1
	v_mul_f16_sdwa v114, v24, v89 dst_sel:DWORD dst_unused:UNUSED_PAD src0_sel:DWORD src1_sel:WORD_1
	v_fma_f16 v19, v19, v30, -v103
	v_fma_f16 v17, v17, v30, v104
	v_fma_f16 v20, v20, v31, -v105
	v_fma_f16 v18, v18, v31, v106
	;; [unrolled: 2-line block ×6, first 2 shown]
	v_pack_b32_f16 v17, v19, v17
	v_pack_b32_f16 v18, v20, v18
	;; [unrolled: 1-line block ×6, first 2 shown]
	ds_write2_b32 v37, v17, v18 offset1:68
	ds_write2_b32 v37, v19, v20 offset0:136 offset1:204
	ds_write2_b32 v25, v21, v22 offset0:16 offset1:84
	v_lshrrev_b32_e32 v20, 16, v27
	s_waitcnt vmcnt(9)
	v_mul_f16_sdwa v17, v20, v91 dst_sel:DWORD dst_unused:UNUSED_PAD src0_sel:DWORD src1_sel:WORD_1
	v_add_u32_e32 v21, 0x800, v37
	v_fma_f16 v22, v27, v91, -v17
	ds_read2_b32 v[17:18], v21 offset0:32 offset1:100
	v_mul_f16_sdwa v115, v102, v90 dst_sel:DWORD dst_unused:UNUSED_PAD src0_sel:DWORD src1_sel:WORD_1
	v_mul_f16_sdwa v116, v26, v90 dst_sel:DWORD dst_unused:UNUSED_PAD src0_sel:DWORD src1_sel:WORD_1
	;; [unrolled: 1-line block ×3, first 2 shown]
	v_fma_f16 v26, v26, v90, -v115
	v_fma_f16 v32, v102, v90, v116
	v_fma_f16 v20, v20, v91, v23
	v_pack_b32_f16 v19, v26, v32
	v_pack_b32_f16 v20, v22, v20
	ds_write2_b32 v25, v19, v20 offset0:152 offset1:220
	s_waitcnt lgkmcnt(1)
	v_lshrrev_b32_e32 v19, 16, v17
	s_waitcnt vmcnt(8)
	v_mul_f16_sdwa v20, v19, v92 dst_sel:DWORD dst_unused:UNUSED_PAD src0_sel:DWORD src1_sel:WORD_1
	v_fma_f16 v20, v17, v92, -v20
	v_mul_f16_sdwa v17, v17, v92 dst_sel:DWORD dst_unused:UNUSED_PAD src0_sel:DWORD src1_sel:WORD_1
	v_lshrrev_b32_e32 v22, 16, v18
	v_fma_f16 v17, v19, v92, v17
	s_waitcnt vmcnt(7)
	v_mul_f16_sdwa v19, v22, v93 dst_sel:DWORD dst_unused:UNUSED_PAD src0_sel:DWORD src1_sel:WORD_1
	v_pack_b32_f16 v17, v20, v17
	v_fma_f16 v23, v18, v93, -v19
	ds_read2_b32 v[19:20], v21 offset0:168 offset1:236
	v_mul_f16_sdwa v18, v18, v93 dst_sel:DWORD dst_unused:UNUSED_PAD src0_sel:DWORD src1_sel:WORD_1
	v_fma_f16 v18, v22, v93, v18
	v_pack_b32_f16 v18, v23, v18
	ds_write2_b32 v21, v17, v18 offset0:32 offset1:100
	s_waitcnt lgkmcnt(1)
	v_lshrrev_b32_e32 v17, 16, v19
	s_waitcnt vmcnt(6)
	v_mul_f16_sdwa v18, v17, v94 dst_sel:DWORD dst_unused:UNUSED_PAD src0_sel:DWORD src1_sel:WORD_1
	v_fma_f16 v18, v19, v94, -v18
	v_mul_f16_sdwa v19, v19, v94 dst_sel:DWORD dst_unused:UNUSED_PAD src0_sel:DWORD src1_sel:WORD_1
	v_fma_f16 v17, v17, v94, v19
	v_lshrrev_b32_e32 v22, 16, v20
	v_pack_b32_f16 v19, v18, v17
	s_waitcnt vmcnt(5)
	v_mul_f16_sdwa v17, v22, v58 dst_sel:DWORD dst_unused:UNUSED_PAD src0_sel:DWORD src1_sel:WORD_1
	v_add_u32_e32 v26, 0xc00, v37
	v_fma_f16 v23, v20, v58, -v17
	ds_read2_b32 v[17:18], v26 offset0:48 offset1:116
	v_mul_f16_sdwa v20, v20, v58 dst_sel:DWORD dst_unused:UNUSED_PAD src0_sel:DWORD src1_sel:WORD_1
	v_fma_f16 v20, v22, v58, v20
	v_pack_b32_f16 v20, v23, v20
	ds_write2_b32 v21, v19, v20 offset0:168 offset1:236
	s_waitcnt lgkmcnt(1)
	v_lshrrev_b32_e32 v19, 16, v17
	s_waitcnt vmcnt(4)
	v_mul_f16_sdwa v20, v19, v95 dst_sel:DWORD dst_unused:UNUSED_PAD src0_sel:DWORD src1_sel:WORD_1
	v_fma_f16 v20, v17, v95, -v20
	v_mul_f16_sdwa v17, v17, v95 dst_sel:DWORD dst_unused:UNUSED_PAD src0_sel:DWORD src1_sel:WORD_1
	v_lshrrev_b32_e32 v22, 16, v18
	v_fma_f16 v17, v19, v95, v17
	s_waitcnt vmcnt(3)
	v_mul_f16_sdwa v19, v22, v96 dst_sel:DWORD dst_unused:UNUSED_PAD src0_sel:DWORD src1_sel:WORD_1
	v_pack_b32_f16 v17, v20, v17
	v_fma_f16 v23, v18, v96, -v19
	ds_read2_b32 v[19:20], v26 offset0:184 offset1:252
	v_mul_f16_sdwa v18, v18, v96 dst_sel:DWORD dst_unused:UNUSED_PAD src0_sel:DWORD src1_sel:WORD_1
	v_fma_f16 v18, v22, v96, v18
	v_pack_b32_f16 v18, v23, v18
	ds_write2_b32 v26, v17, v18 offset0:48 offset1:116
	s_waitcnt lgkmcnt(1)
	v_lshrrev_b32_e32 v17, 16, v19
	s_waitcnt vmcnt(2)
	v_mul_f16_sdwa v18, v17, v97 dst_sel:DWORD dst_unused:UNUSED_PAD src0_sel:DWORD src1_sel:WORD_1
	v_fma_f16 v18, v19, v97, -v18
	v_mul_f16_sdwa v19, v19, v97 dst_sel:DWORD dst_unused:UNUSED_PAD src0_sel:DWORD src1_sel:WORD_1
	v_fma_f16 v17, v17, v97, v19
	v_pack_b32_f16 v17, v18, v17
	v_lshrrev_b32_e32 v18, 16, v20
	ds_read_b32 v22, v37 offset:4352
	s_waitcnt vmcnt(1)
	v_mul_f16_sdwa v19, v18, v98 dst_sel:DWORD dst_unused:UNUSED_PAD src0_sel:DWORD src1_sel:WORD_1
	v_fma_f16 v19, v20, v98, -v19
	v_mul_f16_sdwa v20, v20, v98 dst_sel:DWORD dst_unused:UNUSED_PAD src0_sel:DWORD src1_sel:WORD_1
	v_fma_f16 v18, v18, v98, v20
	v_pack_b32_f16 v18, v19, v18
	ds_write2_b32 v26, v17, v18 offset0:184 offset1:252
	s_waitcnt lgkmcnt(1)
	v_lshrrev_b32_e32 v17, 16, v22
	s_waitcnt vmcnt(0)
	v_mul_f16_sdwa v18, v17, v99 dst_sel:DWORD dst_unused:UNUSED_PAD src0_sel:DWORD src1_sel:WORD_1
	v_mul_f16_sdwa v19, v22, v99 dst_sel:DWORD dst_unused:UNUSED_PAD src0_sel:DWORD src1_sel:WORD_1
	v_fma_f16 v18, v22, v99, -v18
	v_fma_f16 v17, v17, v99, v19
	v_pack_b32_f16 v17, v18, v17
	ds_write_b32 v37, v17 offset:4352
	s_waitcnt lgkmcnt(0)
	s_barrier
	ds_read2_b32 v[17:18], v37 offset1:68
	ds_read2_b32 v[30:31], v25 offset0:152 offset1:220
	ds_read2_b32 v[19:20], v21 offset0:32 offset1:100
	;; [unrolled: 1-line block ×7, first 2 shown]
	ds_read_b32 v22, v37 offset:4352
	s_waitcnt lgkmcnt(8)
	v_pk_add_f16 v23, v17, v18
	s_waitcnt lgkmcnt(3)
	v_pk_add_f16 v23, v23, v92
	v_pk_add_f16 v23, v23, v93
	s_waitcnt lgkmcnt(1)
	v_pk_add_f16 v23, v23, v96
	v_pk_add_f16 v23, v23, v97
	v_pk_add_f16 v23, v23, v30
	v_pk_add_f16 v23, v23, v31
	v_pk_add_f16 v23, v23, v19
	v_pk_add_f16 v23, v23, v20
	v_pk_add_f16 v23, v23, v88
	v_pk_add_f16 v23, v23, v89
	v_pk_add_f16 v23, v23, v90
	v_pk_add_f16 v23, v23, v91
	v_pk_add_f16 v23, v23, v94
	v_pk_add_f16 v23, v23, v95
	s_waitcnt lgkmcnt(0)
	v_pk_add_f16 v27, v23, v22
	v_pk_add_f16 v23, v18, v22 neg_lo:[0,1] neg_hi:[0,1]
	v_pk_add_f16 v24, v22, v18
	v_pk_mul_f16 v22, v23, s24 op_sel_hi:[1,0]
	v_pk_fma_f16 v18, v24, s15, v22 op_sel:[0,0,1] op_sel_hi:[1,0,0]
	v_pk_fma_f16 v22, v24, s15, v22 op_sel:[0,0,1] op_sel_hi:[1,0,0] neg_lo:[0,0,1] neg_hi:[0,0,1]
	v_bfi_b32 v28, s0, v18, v22
	v_pk_add_f16 v32, v17, v28
	v_mul_f16_sdwa v28, v23, s22 dst_sel:DWORD dst_unused:UNUSED_PAD src0_sel:WORD_1 src1_sel:DWORD
	v_fma_f16 v29, v24, s13, v28
	v_add_f16_e32 v36, v17, v29
	v_mul_f16_sdwa v29, v24, s13 dst_sel:DWORD dst_unused:UNUSED_PAD src0_sel:WORD_1 src1_sel:DWORD
	v_fma_f16 v28, v24, s13, -v28
	v_add_f16_e32 v98, v17, v28
	v_fma_f16 v28, v23, s22, v29
	v_add_f16_sdwa v99, v17, v28 dst_sel:DWORD dst_unused:UNUSED_PAD src0_sel:WORD_1 src1_sel:DWORD
	v_mul_f16_sdwa v28, v23, s20 dst_sel:DWORD dst_unused:UNUSED_PAD src0_sel:WORD_1 src1_sel:DWORD
	v_fma_f16 v58, v23, s14, v29
	v_fma_f16 v29, v24, s5, v28
	v_add_f16_e32 v100, v17, v29
	v_mul_f16_sdwa v29, v24, s5 dst_sel:DWORD dst_unused:UNUSED_PAD src0_sel:WORD_1 src1_sel:DWORD
	v_fma_f16 v28, v24, s5, -v28
	v_add_f16_e32 v102, v17, v28
	v_fma_f16 v28, v23, s20, v29
	v_add_f16_sdwa v103, v17, v28 dst_sel:DWORD dst_unused:UNUSED_PAD src0_sel:WORD_1 src1_sel:DWORD
	v_mul_f16_sdwa v28, v23, s30 dst_sel:DWORD dst_unused:UNUSED_PAD src0_sel:WORD_1 src1_sel:DWORD
	v_fma_f16 v101, v23, s12, v29
	;; [unrolled: 9-line block ×5, first 2 shown]
	v_fma_f16 v29, v24, s23, v28
	v_add_f16_e32 v116, v17, v29
	v_mul_f16_sdwa v29, v24, s23 dst_sel:DWORD dst_unused:UNUSED_PAD src0_sel:WORD_1 src1_sel:DWORD
	v_fma_f16 v28, v24, s23, -v28
	v_pk_add_f16 v120, v95, v92
	v_pk_add_f16 v92, v92, v95 neg_lo:[0,1] neg_hi:[0,1]
	v_fma_f16 v117, v23, s29, v29
	v_add_f16_e32 v118, v17, v28
	v_fma_f16 v28, v23, s21, v29
	v_pk_mul_f16 v29, v92, s22 op_sel_hi:[1,0]
	v_add_f16_sdwa v119, v17, v28 dst_sel:DWORD dst_unused:UNUSED_PAD src0_sel:WORD_1 src1_sel:DWORD
	v_pk_fma_f16 v28, v120, s13, v29 op_sel:[0,0,1] op_sel_hi:[1,0,0]
	v_pk_fma_f16 v29, v120, s13, v29 op_sel:[0,0,1] op_sel_hi:[1,0,0] neg_lo:[0,0,1] neg_hi:[0,0,1]
	v_bfi_b32 v95, s0, v28, v29
	v_pk_add_f16 v32, v95, v32
	v_mul_f16_sdwa v95, v92, s30 dst_sel:DWORD dst_unused:UNUSED_PAD src0_sel:WORD_1 src1_sel:DWORD
	v_fma_f16 v121, v120, s1, v95
	v_add_f16_e32 v36, v121, v36
	v_mul_f16_sdwa v121, v120, s1 dst_sel:DWORD dst_unused:UNUSED_PAD src0_sel:WORD_1 src1_sel:DWORD
	v_fma_f16 v95, v120, s1, -v95
	v_add_f16_e32 v95, v95, v98
	v_fma_f16 v98, v92, s30, v121
	v_add_f16_e32 v98, v98, v99
	v_mul_f16_sdwa v99, v92, s18 dst_sel:DWORD dst_unused:UNUSED_PAD src0_sel:WORD_1 src1_sel:DWORD
	v_fma_f16 v122, v92, s4, v121
	v_fma_f16 v121, v120, s19, v99
	v_add_f16_e32 v100, v121, v100
	v_mul_f16_sdwa v121, v120, s19 dst_sel:DWORD dst_unused:UNUSED_PAD src0_sel:WORD_1 src1_sel:DWORD
	v_fma_f16 v99, v120, s19, -v99
	v_add_f16_e32 v99, v99, v102
	v_fma_f16 v102, v92, s18, v121
	v_add_f16_sdwa v58, v17, v58 dst_sel:DWORD dst_unused:UNUSED_PAD src0_sel:WORD_1 src1_sel:DWORD
	v_add_f16_e32 v102, v102, v103
	v_mul_f16_sdwa v103, v92, s27 dst_sel:DWORD dst_unused:UNUSED_PAD src0_sel:WORD_1 src1_sel:DWORD
	v_add_f16_e32 v58, v122, v58
	v_fma_f16 v122, v92, s26, v121
	v_fma_f16 v121, v120, s28, v103
	v_add_f16_e32 v104, v121, v104
	v_mul_f16_sdwa v121, v120, s28 dst_sel:DWORD dst_unused:UNUSED_PAD src0_sel:WORD_1 src1_sel:DWORD
	v_fma_f16 v103, v120, s28, -v103
	v_add_f16_e32 v103, v103, v106
	v_fma_f16 v106, v92, s27, v121
	v_add_f16_sdwa v101, v17, v101 dst_sel:DWORD dst_unused:UNUSED_PAD src0_sel:WORD_1 src1_sel:DWORD
	v_add_f16_e32 v106, v106, v107
	v_mul_f16_sdwa v107, v92, s29 dst_sel:DWORD dst_unused:UNUSED_PAD src0_sel:WORD_1 src1_sel:DWORD
	v_add_f16_e32 v101, v122, v101
	;; [unrolled: 11-line block ×4, first 2 shown]
	v_fma_f16 v122, v92, s16, v121
	v_fma_f16 v121, v120, s5, v115
	v_add_f16_e32 v116, v121, v116
	v_mul_f16_sdwa v121, v120, s5 dst_sel:DWORD dst_unused:UNUSED_PAD src0_sel:WORD_1 src1_sel:DWORD
	v_fma_f16 v115, v120, s5, -v115
	v_add_f16_e32 v115, v115, v118
	v_fma_f16 v118, v92, s12, v121
	v_add_f16_e32 v118, v118, v119
	v_pk_add_f16 v119, v94, v93
	v_pk_add_f16 v93, v93, v94 neg_lo:[0,1] neg_hi:[0,1]
	v_add_f16_sdwa v113, v17, v113 dst_sel:DWORD dst_unused:UNUSED_PAD src0_sel:WORD_1 src1_sel:DWORD
	v_pk_mul_f16 v94, v93, s20 op_sel_hi:[1,0]
	v_add_f16_sdwa v117, v17, v117 dst_sel:DWORD dst_unused:UNUSED_PAD src0_sel:WORD_1 src1_sel:DWORD
	v_add_f16_e32 v113, v122, v113
	v_fma_f16 v122, v92, s20, v121
	v_pk_fma_f16 v121, v119, s5, v94 op_sel:[0,0,1] op_sel_hi:[1,0,0]
	v_pk_fma_f16 v94, v119, s5, v94 op_sel:[0,0,1] op_sel_hi:[1,0,0] neg_lo:[0,0,1] neg_hi:[0,0,1]
	v_add_f16_e32 v117, v122, v117
	v_bfi_b32 v122, s0, v121, v94
	v_pk_add_f16 v32, v122, v32
	v_mul_f16_sdwa v122, v93, s18 dst_sel:DWORD dst_unused:UNUSED_PAD src0_sel:WORD_1 src1_sel:DWORD
	v_fma_f16 v123, v119, s19, v122
	v_add_f16_e32 v36, v123, v36
	v_mul_f16_sdwa v123, v119, s19 dst_sel:DWORD dst_unused:UNUSED_PAD src0_sel:WORD_1 src1_sel:DWORD
	v_fma_f16 v122, v119, s19, -v122
	v_add_f16_e32 v95, v122, v95
	v_fma_f16 v122, v93, s18, v123
	v_add_f16_e32 v98, v122, v98
	v_mul_f16_sdwa v122, v93, s33 dst_sel:DWORD dst_unused:UNUSED_PAD src0_sel:WORD_1 src1_sel:DWORD
	v_fma_f16 v124, v93, s26, v123
	v_fma_f16 v123, v119, s28, v122
	v_add_f16_e32 v100, v123, v100
	v_mul_f16_sdwa v123, v119, s28 dst_sel:DWORD dst_unused:UNUSED_PAD src0_sel:WORD_1 src1_sel:DWORD
	v_fma_f16 v122, v119, s28, -v122
	v_add_f16_e32 v99, v122, v99
	v_fma_f16 v122, v93, s33, v123
	v_add_f16_e32 v102, v122, v102
	v_mul_f16_sdwa v122, v93, s25 dst_sel:DWORD dst_unused:UNUSED_PAD src0_sel:WORD_1 src1_sel:DWORD
	v_add_f16_e32 v58, v124, v58
	v_fma_f16 v124, v93, s27, v123
	v_fma_f16 v123, v119, s17, v122
	v_add_f16_e32 v104, v123, v104
	v_mul_f16_sdwa v123, v119, s17 dst_sel:DWORD dst_unused:UNUSED_PAD src0_sel:WORD_1 src1_sel:DWORD
	v_fma_f16 v122, v119, s17, -v122
	v_add_f16_e32 v103, v122, v103
	v_fma_f16 v122, v93, s25, v123
	v_add_f16_e32 v106, v122, v106
	v_mul_f16_sdwa v122, v93, s14 dst_sel:DWORD dst_unused:UNUSED_PAD src0_sel:WORD_1 src1_sel:DWORD
	v_add_f16_e32 v101, v124, v101
	;; [unrolled: 10-line block ×4, first 2 shown]
	v_fma_f16 v124, v93, s31, v123
	v_fma_f16 v123, v119, s1, v122
	v_add_f16_e32 v116, v123, v116
	v_mul_f16_sdwa v123, v119, s1 dst_sel:DWORD dst_unused:UNUSED_PAD src0_sel:WORD_1 src1_sel:DWORD
	v_fma_f16 v122, v119, s1, -v122
	v_add_f16_e32 v115, v122, v115
	v_fma_f16 v122, v93, s30, v123
	v_add_f16_e32 v118, v122, v118
	v_pk_add_f16 v122, v91, v96
	v_pk_add_f16 v91, v96, v91 neg_lo:[0,1] neg_hi:[0,1]
	v_pk_mul_f16 v96, v91, s30 op_sel_hi:[1,0]
	v_add_f16_e32 v113, v124, v113
	v_fma_f16 v124, v93, s4, v123
	v_pk_fma_f16 v123, v122, s1, v96 op_sel:[0,0,1] op_sel_hi:[1,0,0]
	v_pk_fma_f16 v96, v122, s1, v96 op_sel:[0,0,1] op_sel_hi:[1,0,0] neg_lo:[0,0,1] neg_hi:[0,0,1]
	v_add_f16_e32 v117, v124, v117
	v_bfi_b32 v124, s0, v123, v96
	v_pk_add_f16 v32, v124, v32
	v_mul_f16_sdwa v124, v91, s27 dst_sel:DWORD dst_unused:UNUSED_PAD src0_sel:WORD_1 src1_sel:DWORD
	v_fma_f16 v125, v122, s28, v124
	v_add_f16_e32 v36, v125, v36
	v_mul_f16_sdwa v125, v122, s28 dst_sel:DWORD dst_unused:UNUSED_PAD src0_sel:WORD_1 src1_sel:DWORD
	v_fma_f16 v124, v122, s28, -v124
	v_add_f16_e32 v95, v124, v95
	v_fma_f16 v124, v91, s27, v125
	v_add_f16_e32 v98, v124, v98
	v_mul_f16_sdwa v124, v91, s25 dst_sel:DWORD dst_unused:UNUSED_PAD src0_sel:WORD_1 src1_sel:DWORD
	v_fma_f16 v126, v91, s33, v125
	v_fma_f16 v125, v122, s17, v124
	v_add_f16_e32 v100, v125, v100
	v_mul_f16_sdwa v125, v122, s17 dst_sel:DWORD dst_unused:UNUSED_PAD src0_sel:WORD_1 src1_sel:DWORD
	v_fma_f16 v124, v122, s17, -v124
	v_add_f16_e32 v99, v124, v99
	v_fma_f16 v124, v91, s25, v125
	v_add_f16_e32 v102, v124, v102
	v_mul_f16_sdwa v124, v91, s31 dst_sel:DWORD dst_unused:UNUSED_PAD src0_sel:WORD_1 src1_sel:DWORD
	v_add_f16_e32 v58, v126, v58
	v_fma_f16 v126, v91, s16, v125
	v_fma_f16 v125, v122, s15, v124
	v_add_f16_e32 v104, v125, v104
	v_mul_f16_sdwa v125, v122, s15 dst_sel:DWORD dst_unused:UNUSED_PAD src0_sel:WORD_1 src1_sel:DWORD
	v_fma_f16 v124, v122, s15, -v124
	v_add_f16_e32 v103, v124, v103
	v_fma_f16 v124, v91, s31, v125
	v_add_f16_e32 v106, v124, v106
	v_mul_f16_sdwa v124, v91, s20 dst_sel:DWORD dst_unused:UNUSED_PAD src0_sel:WORD_1 src1_sel:DWORD
	v_add_f16_e32 v101, v126, v101
	;; [unrolled: 10-line block ×4, first 2 shown]
	v_fma_f16 v126, v91, s29, v125
	v_fma_f16 v125, v122, s19, v124
	v_add_f16_e32 v116, v125, v116
	v_mul_f16_sdwa v125, v122, s19 dst_sel:DWORD dst_unused:UNUSED_PAD src0_sel:WORD_1 src1_sel:DWORD
	v_fma_f16 v124, v122, s19, -v124
	v_add_f16_e32 v115, v124, v115
	v_fma_f16 v124, v91, s26, v125
	v_add_f16_e32 v118, v124, v118
	v_pk_add_f16 v124, v90, v97
	v_pk_add_f16 v90, v97, v90 neg_lo:[0,1] neg_hi:[0,1]
	v_pk_mul_f16 v97, v90, s16 op_sel_hi:[1,0]
	v_add_f16_e32 v113, v126, v113
	v_fma_f16 v126, v91, s18, v125
	v_pk_fma_f16 v125, v124, s17, v97 op_sel:[0,0,1] op_sel_hi:[1,0,0]
	v_pk_fma_f16 v97, v124, s17, v97 op_sel:[0,0,1] op_sel_hi:[1,0,0] neg_lo:[0,0,1] neg_hi:[0,0,1]
	v_add_f16_e32 v117, v126, v117
	v_bfi_b32 v126, s0, v125, v97
	v_pk_add_f16 v32, v126, v32
	v_mul_f16_sdwa v126, v90, s29 dst_sel:DWORD dst_unused:UNUSED_PAD src0_sel:WORD_1 src1_sel:DWORD
	v_fma_f16 v127, v124, s23, v126
	v_add_f16_e32 v36, v127, v36
	v_mul_f16_sdwa v127, v124, s23 dst_sel:DWORD dst_unused:UNUSED_PAD src0_sel:WORD_1 src1_sel:DWORD
	v_fma_f16 v126, v124, s23, -v126
	v_add_f16_e32 v95, v126, v95
	v_fma_f16 v126, v90, s29, v127
	v_add_f16_e32 v98, v126, v98
	v_mul_f16_sdwa v126, v90, s14 dst_sel:DWORD dst_unused:UNUSED_PAD src0_sel:WORD_1 src1_sel:DWORD
	v_fma_f16 v128, v90, s21, v127
	v_fma_f16 v127, v124, s13, v126
	v_add_f16_e32 v100, v127, v100
	v_mul_f16_sdwa v127, v124, s13 dst_sel:DWORD dst_unused:UNUSED_PAD src0_sel:WORD_1 src1_sel:DWORD
	v_fma_f16 v126, v124, s13, -v126
	v_add_f16_e32 v99, v126, v99
	v_fma_f16 v126, v90, s14, v127
	v_add_f16_e32 v102, v126, v102
	v_mul_f16_sdwa v126, v90, s20 dst_sel:DWORD dst_unused:UNUSED_PAD src0_sel:WORD_1 src1_sel:DWORD
	v_add_f16_e32 v58, v128, v58
	v_fma_f16 v128, v90, s22, v127
	v_fma_f16 v127, v124, s5, v126
	v_add_f16_e32 v104, v127, v104
	v_mul_f16_sdwa v127, v124, s5 dst_sel:DWORD dst_unused:UNUSED_PAD src0_sel:WORD_1 src1_sel:DWORD
	v_fma_f16 v126, v124, s5, -v126
	v_add_f16_e32 v103, v126, v103
	v_fma_f16 v126, v90, s20, v127
	v_add_f16_e32 v106, v126, v106
	v_mul_f16_sdwa v126, v90, s27 dst_sel:DWORD dst_unused:UNUSED_PAD src0_sel:WORD_1 src1_sel:DWORD
	v_add_f16_e32 v101, v128, v101
	;; [unrolled: 10-line block ×4, first 2 shown]
	v_fma_f16 v128, v90, s30, v127
	v_fma_f16 v127, v124, s15, v126
	v_add_f16_e32 v116, v127, v116
	v_mul_f16_sdwa v127, v124, s15 dst_sel:DWORD dst_unused:UNUSED_PAD src0_sel:WORD_1 src1_sel:DWORD
	v_fma_f16 v126, v124, s15, -v126
	v_add_f16_e32 v115, v126, v115
	v_fma_f16 v126, v90, s24, v127
	v_add_f16_e32 v118, v126, v118
	v_pk_add_f16 v126, v89, v30
	v_pk_add_f16 v30, v30, v89 neg_lo:[0,1] neg_hi:[0,1]
	v_pk_mul_f16 v89, v30, s18 op_sel_hi:[1,0]
	v_add_f16_e32 v113, v128, v113
	v_fma_f16 v128, v90, s31, v127
	v_pk_fma_f16 v127, v126, s19, v89 op_sel:[0,0,1] op_sel_hi:[1,0,0]
	v_pk_fma_f16 v89, v126, s19, v89 op_sel:[0,0,1] op_sel_hi:[1,0,0] neg_lo:[0,0,1] neg_hi:[0,0,1]
	v_add_f16_e32 v117, v128, v117
	v_bfi_b32 v128, s0, v127, v89
	v_pk_add_f16 v32, v128, v32
	v_mul_f16_sdwa v128, v30, s25 dst_sel:DWORD dst_unused:UNUSED_PAD src0_sel:WORD_1 src1_sel:DWORD
	v_fma_f16 v129, v126, s17, v128
	v_add_f16_e32 v36, v129, v36
	v_mul_f16_sdwa v129, v126, s17 dst_sel:DWORD dst_unused:UNUSED_PAD src0_sel:WORD_1 src1_sel:DWORD
	v_fma_f16 v128, v126, s17, -v128
	v_add_f16_e32 v95, v128, v95
	v_fma_f16 v128, v30, s25, v129
	v_add_f16_e32 v98, v128, v98
	v_mul_f16_sdwa v128, v30, s24 dst_sel:DWORD dst_unused:UNUSED_PAD src0_sel:WORD_1 src1_sel:DWORD
	v_fma_f16 v130, v30, s16, v129
	v_fma_f16 v129, v126, s15, v128
	v_add_f16_e32 v100, v129, v100
	v_mul_f16_sdwa v129, v126, s15 dst_sel:DWORD dst_unused:UNUSED_PAD src0_sel:WORD_1 src1_sel:DWORD
	v_fma_f16 v128, v126, s15, -v128
	v_add_f16_e32 v99, v128, v99
	v_fma_f16 v128, v30, s24, v129
	v_add_f16_e32 v102, v128, v102
	v_mul_f16_sdwa v128, v30, s21 dst_sel:DWORD dst_unused:UNUSED_PAD src0_sel:WORD_1 src1_sel:DWORD
	v_add_f16_e32 v58, v130, v58
	v_fma_f16 v130, v30, s31, v129
	v_fma_f16 v129, v126, s23, v128
	v_add_f16_e32 v104, v129, v104
	v_mul_f16_sdwa v129, v126, s23 dst_sel:DWORD dst_unused:UNUSED_PAD src0_sel:WORD_1 src1_sel:DWORD
	v_fma_f16 v128, v126, s23, -v128
	v_add_f16_e32 v103, v128, v103
	v_fma_f16 v128, v30, s21, v129
	v_add_f16_e32 v106, v128, v106
	v_mul_f16_sdwa v128, v30, s4 dst_sel:DWORD dst_unused:UNUSED_PAD src0_sel:WORD_1 src1_sel:DWORD
	v_add_f16_e32 v101, v130, v101
	;; [unrolled: 10-line block ×4, first 2 shown]
	v_fma_f16 v130, v30, s14, v129
	v_fma_f16 v129, v126, s28, v128
	v_add_f16_e32 v116, v129, v116
	v_mul_f16_sdwa v129, v126, s28 dst_sel:DWORD dst_unused:UNUSED_PAD src0_sel:WORD_1 src1_sel:DWORD
	v_fma_f16 v128, v126, s28, -v128
	v_add_f16_e32 v115, v128, v115
	v_fma_f16 v128, v30, s27, v129
	v_add_f16_e32 v118, v128, v118
	v_pk_add_f16 v128, v88, v31
	v_pk_add_f16 v31, v31, v88 neg_lo:[0,1] neg_hi:[0,1]
	v_pk_mul_f16 v88, v31, s21 op_sel_hi:[1,0]
	v_add_f16_e32 v113, v130, v113
	v_fma_f16 v130, v30, s33, v129
	v_pk_fma_f16 v129, v128, s23, v88 op_sel:[0,0,1] op_sel_hi:[1,0,0]
	v_pk_fma_f16 v88, v128, s23, v88 op_sel:[0,0,1] op_sel_hi:[1,0,0] neg_lo:[0,0,1] neg_hi:[0,0,1]
	v_add_f16_e32 v117, v130, v117
	v_bfi_b32 v130, s0, v129, v88
	v_pk_add_f16 v32, v130, v32
	v_mul_f16_sdwa v130, v31, s12 dst_sel:DWORD dst_unused:UNUSED_PAD src0_sel:WORD_1 src1_sel:DWORD
	v_fma_f16 v131, v128, s5, v130
	v_add_f16_e32 v36, v131, v36
	v_mul_f16_sdwa v131, v128, s5 dst_sel:DWORD dst_unused:UNUSED_PAD src0_sel:WORD_1 src1_sel:DWORD
	v_fma_f16 v130, v128, s5, -v130
	v_add_f16_e32 v95, v130, v95
	v_fma_f16 v130, v31, s12, v131
	v_add_f16_e32 v98, v130, v98
	v_mul_f16_sdwa v130, v31, s30 dst_sel:DWORD dst_unused:UNUSED_PAD src0_sel:WORD_1 src1_sel:DWORD
	v_fma_f16 v132, v31, s20, v131
	v_fma_f16 v131, v128, s1, v130
	v_add_f16_e32 v100, v131, v100
	v_mul_f16_sdwa v131, v128, s1 dst_sel:DWORD dst_unused:UNUSED_PAD src0_sel:WORD_1 src1_sel:DWORD
	v_fma_f16 v130, v128, s1, -v130
	v_add_f16_e32 v99, v130, v99
	v_fma_f16 v130, v31, s30, v131
	v_add_f16_e32 v102, v130, v102
	v_mul_f16_sdwa v130, v31, s26 dst_sel:DWORD dst_unused:UNUSED_PAD src0_sel:WORD_1 src1_sel:DWORD
	v_add_f16_e32 v58, v132, v58
	v_fma_f16 v132, v31, s4, v131
	v_fma_f16 v131, v128, s19, v130
	v_add_f16_e32 v104, v131, v104
	v_mul_f16_sdwa v131, v128, s19 dst_sel:DWORD dst_unused:UNUSED_PAD src0_sel:WORD_1 src1_sel:DWORD
	v_fma_f16 v130, v128, s19, -v130
	v_add_f16_e32 v103, v130, v103
	v_fma_f16 v130, v31, s26, v131
	v_add_f16_e32 v106, v130, v106
	v_mul_f16_sdwa v130, v31, s24 dst_sel:DWORD dst_unused:UNUSED_PAD src0_sel:WORD_1 src1_sel:DWORD
	v_add_f16_e32 v101, v132, v101
	;; [unrolled: 10-line block ×4, first 2 shown]
	v_fma_f16 v132, v31, s33, v131
	v_fma_f16 v131, v128, s13, v130
	v_add_f16_e32 v116, v131, v116
	v_mul_f16_sdwa v131, v128, s13 dst_sel:DWORD dst_unused:UNUSED_PAD src0_sel:WORD_1 src1_sel:DWORD
	v_fma_f16 v130, v128, s13, -v130
	v_add_f16_e32 v115, v130, v115
	v_fma_f16 v130, v31, s14, v131
	v_add_f16_e32 v118, v130, v118
	v_pk_add_f16 v130, v20, v19
	v_pk_add_f16 v19, v19, v20 neg_lo:[0,1] neg_hi:[0,1]
	v_pk_mul_f16 v20, v19, s27 op_sel_hi:[1,0]
	v_add_f16_e32 v113, v132, v113
	v_fma_f16 v132, v31, s22, v131
	v_pk_fma_f16 v131, v130, s28, v20 op_sel:[0,0,1] op_sel_hi:[1,0,0]
	v_pk_fma_f16 v20, v130, s28, v20 op_sel:[0,0,1] op_sel_hi:[1,0,0] neg_lo:[0,0,1] neg_hi:[0,0,1]
	v_add_f16_e32 v117, v132, v117
	v_bfi_b32 v132, s0, v131, v20
	v_pk_add_f16 v32, v132, v32
	v_mul_f16_sdwa v132, v19, s31 dst_sel:DWORD dst_unused:UNUSED_PAD src0_sel:WORD_1 src1_sel:DWORD
	v_fma_f16 v133, v130, s15, v132
	v_add_f16_e32 v36, v133, v36
	v_mul_f16_sdwa v133, v130, s15 dst_sel:DWORD dst_unused:UNUSED_PAD src0_sel:WORD_1 src1_sel:DWORD
	v_fma_f16 v132, v130, s15, -v132
	v_add_f16_e32 v95, v132, v95
	v_fma_f16 v132, v19, s31, v133
	v_add_f16_e32 v98, v132, v98
	v_mul_f16_sdwa v132, v19, s21 dst_sel:DWORD dst_unused:UNUSED_PAD src0_sel:WORD_1 src1_sel:DWORD
	v_fma_f16 v134, v19, s24, v133
	v_fma_f16 v133, v130, s23, v132
	v_add_f16_e32 v100, v133, v100
	v_mul_f16_sdwa v133, v130, s23 dst_sel:DWORD dst_unused:UNUSED_PAD src0_sel:WORD_1 src1_sel:DWORD
	v_fma_f16 v132, v130, s23, -v132
	v_add_f16_e32 v99, v132, v99
	v_fma_f16 v132, v19, s21, v133
	v_add_f16_e32 v102, v132, v102
	v_mul_f16_sdwa v132, v19, s14 dst_sel:DWORD dst_unused:UNUSED_PAD src0_sel:WORD_1 src1_sel:DWORD
	v_add_f16_e32 v58, v134, v58
	v_fma_f16 v134, v19, s29, v133
	v_fma_f16 v133, v130, s13, v132
	v_add_f16_e32 v104, v133, v104
	v_mul_f16_sdwa v133, v130, s13 dst_sel:DWORD dst_unused:UNUSED_PAD src0_sel:WORD_1 src1_sel:DWORD
	v_fma_f16 v132, v130, s13, -v132
	v_add_f16_e32 v103, v132, v103
	v_fma_f16 v132, v19, s14, v133
	v_add_f16_e32 v106, v132, v106
	v_mul_f16_sdwa v132, v19, s18 dst_sel:DWORD dst_unused:UNUSED_PAD src0_sel:WORD_1 src1_sel:DWORD
	v_add_f16_e32 v101, v134, v101
	v_fma_f16 v134, v19, s22, v133
	v_fma_f16 v133, v130, s19, v132
	v_add_f16_e32 v108, v133, v108
	v_mul_f16_sdwa v133, v130, s19 dst_sel:DWORD dst_unused:UNUSED_PAD src0_sel:WORD_1 src1_sel:DWORD
	v_fma_f16 v132, v130, s19, -v132
	v_add_f16_e32 v107, v132, v107
	v_fma_f16 v132, v19, s18, v133
	v_add_f16_e32 v110, v132, v110
	v_mul_f16_sdwa v132, v19, s12 dst_sel:DWORD dst_unused:UNUSED_PAD src0_sel:WORD_1 src1_sel:DWORD
	v_add_f16_e32 v105, v134, v105
	v_fma_f16 v134, v19, s26, v133
	v_fma_f16 v133, v130, s5, v132
	v_add_f16_e32 v112, v133, v112
	v_mul_f16_sdwa v133, v130, s5 dst_sel:DWORD dst_unused:UNUSED_PAD src0_sel:WORD_1 src1_sel:DWORD
	v_fma_f16 v132, v130, s5, -v132
	v_add_f16_e32 v111, v132, v111
	v_fma_f16 v132, v19, s12, v133
	v_add_f16_e32 v114, v132, v114
	v_mul_f16_sdwa v132, v19, s16 dst_sel:DWORD dst_unused:UNUSED_PAD src0_sel:WORD_1 src1_sel:DWORD
	v_add_f16_e32 v109, v134, v109
	v_fma_f16 v134, v19, s20, v133
	v_fma_f16 v133, v130, s17, v132
	v_add_f16_e32 v116, v133, v116
	v_mul_f16_sdwa v133, v130, s17 dst_sel:DWORD dst_unused:UNUSED_PAD src0_sel:WORD_1 src1_sel:DWORD
	v_add_f16_e32 v113, v134, v113
	v_fma_f16 v134, v19, s25, v133
	s_barrier
	ds_write2_b32 v57, v27, v32 offset1:1
	v_pack_b32_f16 v27, v100, v101
	v_pack_b32_f16 v32, v36, v58
	v_add_f16_e32 v117, v134, v117
	ds_write2_b32 v57, v32, v27 offset0:2 offset1:3
	v_pack_b32_f16 v27, v108, v109
	v_pack_b32_f16 v32, v104, v105
	ds_write2_b32 v57, v32, v27 offset0:4 offset1:5
	v_pack_b32_f16 v27, v116, v117
	v_pack_b32_f16 v32, v112, v113
	v_pk_mul_f16 v24, v24, s28 op_sel_hi:[1,0]
	ds_write2_b32 v57, v32, v27 offset0:6 offset1:7
	v_pk_fma_f16 v27, v23, s27, v24 op_sel:[0,0,1] op_sel_hi:[1,0,0]
	v_pk_fma_f16 v23, v23, s27, v24 op_sel:[0,0,1] op_sel_hi:[1,0,0] neg_lo:[1,0,0] neg_hi:[1,0,0]
	v_alignbit_b32 v24, s0, v17, 16
	v_alignbit_b32 v32, s0, v27, 16
	v_pk_add_f16 v24, v24, v27
	v_pk_mul_f16 v27, v120, s15 op_sel_hi:[1,0]
	v_pk_add_f16 v23, v17, v23 op_sel:[1,0] op_sel_hi:[0,1]
	v_pk_fma_f16 v36, v92, s31, v27 op_sel:[0,0,1] op_sel_hi:[1,0,0]
	v_pk_fma_f16 v27, v92, s31, v27 op_sel:[0,0,1] op_sel_hi:[1,0,0] neg_lo:[1,0,0] neg_hi:[1,0,0]
	v_pk_add_f16 v23, v27, v23
	v_pk_mul_f16 v27, v119, s23 op_sel_hi:[1,0]
	v_alignbit_b32 v58, s0, v36, 16
	v_pk_add_f16 v24, v36, v24
	v_pk_fma_f16 v36, v93, s21, v27 op_sel:[0,0,1] op_sel_hi:[1,0,0]
	v_pk_fma_f16 v27, v93, s21, v27 op_sel:[0,0,1] op_sel_hi:[1,0,0] neg_lo:[1,0,0] neg_hi:[1,0,0]
	v_pk_add_f16 v32, v17, v32
	v_pk_add_f16 v23, v27, v23
	v_pk_mul_f16 v27, v122, s13 op_sel_hi:[1,0]
	v_pk_add_f16 v32, v58, v32
	v_alignbit_b32 v58, s0, v36, 16
	v_pk_add_f16 v24, v36, v24
	v_pk_fma_f16 v36, v91, s14, v27 op_sel:[0,0,1] op_sel_hi:[1,0,0]
	v_pk_fma_f16 v27, v91, s14, v27 op_sel:[0,0,1] op_sel_hi:[1,0,0] neg_lo:[1,0,0] neg_hi:[1,0,0]
	v_pk_add_f16 v23, v27, v23
	v_pk_mul_f16 v27, v124, s19 op_sel_hi:[1,0]
	v_pk_add_f16 v32, v58, v32
	v_alignbit_b32 v58, s0, v36, 16
	v_pk_add_f16 v24, v36, v24
	v_pk_fma_f16 v36, v90, s18, v27 op_sel:[0,0,1] op_sel_hi:[1,0,0]
	v_pk_fma_f16 v27, v90, s18, v27 op_sel:[0,0,1] op_sel_hi:[1,0,0] neg_lo:[1,0,0] neg_hi:[1,0,0]
	;; [unrolled: 7-line block ×3, first 2 shown]
	v_pk_add_f16 v23, v27, v23
	v_pk_mul_f16 v27, v128, s17 op_sel_hi:[1,0]
	v_pk_fma_f16 v30, v31, s16, v27 op_sel:[0,0,1] op_sel_hi:[1,0,0]
	v_pk_fma_f16 v27, v31, s16, v27 op_sel:[0,0,1] op_sel_hi:[1,0,0] neg_lo:[1,0,0] neg_hi:[1,0,0]
	v_bfi_b32 v18, s0, v22, v18
	v_pk_add_f16 v32, v58, v32
	v_alignbit_b32 v58, s0, v36, 16
	v_pk_add_f16 v24, v36, v24
	v_pk_add_f16 v23, v27, v23
	v_pk_mul_f16 v27, v130, s1 op_sel_hi:[1,0]
	v_pk_add_f16 v17, v17, v18
	v_bfi_b32 v18, s0, v29, v28
	v_fma_f16 v132, v130, s17, -v132
	v_pk_add_f16 v32, v58, v32
	v_alignbit_b32 v36, s0, v30, 16
	v_pk_add_f16 v24, v30, v24
	v_pk_fma_f16 v30, v19, s4, v27 op_sel:[0,0,1] op_sel_hi:[1,0,0]
	v_pk_add_f16 v17, v18, v17
	v_bfi_b32 v18, s0, v94, v121
	v_add_f16_e32 v115, v132, v115
	v_fma_f16 v132, v19, s16, v133
	v_pk_add_f16 v32, v36, v32
	v_alignbit_b32 v31, s0, v30, 16
	v_pk_fma_f16 v19, v19, s4, v27 op_sel:[0,0,1] op_sel_hi:[1,0,0] neg_lo:[1,0,0] neg_hi:[1,0,0]
	v_pk_add_f16 v17, v18, v17
	v_bfi_b32 v18, s0, v96, v123
	v_pk_add_f16 v31, v31, v32
	v_pk_add_f16 v19, v19, v23
	v_pk_add_f16 v23, v30, v24
	v_pk_add_f16 v17, v18, v17
	v_bfi_b32 v18, s0, v97, v125
	v_add_f16_e32 v118, v132, v118
	v_alignbit_b32 v23, v23, v19, 16
	v_pack_b32_f16 v19, v31, v19
	v_pk_add_f16 v17, v18, v17
	v_bfi_b32 v18, s0, v89, v127
	ds_write2_b32 v57, v19, v23 offset0:8 offset1:9
	v_pack_b32_f16 v19, v111, v114
	v_pack_b32_f16 v23, v115, v118
	v_pk_add_f16 v17, v18, v17
	v_bfi_b32 v18, s0, v88, v129
	ds_write2_b32 v57, v23, v19 offset0:10 offset1:11
	v_pack_b32_f16 v19, v103, v106
	;; [unrolled: 5-line block ×3, first 2 shown]
	v_pack_b32_f16 v23, v99, v102
	v_pk_add_f16 v36, v18, v17
	v_add_u32_e32 v17, 0xa00, v37
	ds_write2_b32 v57, v23, v19 offset0:14 offset1:15
	ds_write_b32 v57, v36 offset:64
	s_waitcnt lgkmcnt(0)
	s_barrier
	ds_read2_b32 v[23:24], v37 offset1:68
	ds_read2_b32 v[31:32], v21 offset0:66 offset1:134
	ds_read2_b32 v[21:22], v37 offset0:136 offset1:204
	;; [unrolled: 1-line block ×6, first 2 shown]
	v_add_u32_e32 v25, 0xe00, v37
	ds_read2_b32 v[25:26], v25 offset0:90 offset1:158
	v_lshrrev_b32_e32 v57, 16, v36
	s_and_saveexec_b64 s[0:1], s[2:3]
	s_cbranch_execz .LBB0_11
; %bb.10:
	ds_read_b32 v36, v37 offset:2176
	ds_read_b32 v34, v37 offset:4488
	s_waitcnt lgkmcnt(1)
	v_lshrrev_b32_e32 v57, 16, v36
	s_waitcnt lgkmcnt(0)
	v_lshrrev_b32_e32 v35, 16, v34
.LBB0_11:
	s_or_b64 exec, exec, s[0:1]
	s_waitcnt lgkmcnt(6)
	v_lshrrev_b32_e32 v88, 16, v31
	v_mul_f16_sdwa v103, v62, v88 dst_sel:DWORD dst_unused:UNUSED_PAD src0_sel:WORD_1 src1_sel:DWORD
	v_lshrrev_b32_e32 v90, 16, v32
	v_fma_f16 v103, v62, v31, v103
	v_mul_f16_sdwa v31, v62, v31 dst_sel:DWORD dst_unused:UNUSED_PAD src0_sel:WORD_1 src1_sel:DWORD
	v_fma_f16 v31, v62, v88, -v31
	v_mul_f16_sdwa v62, v63, v90 dst_sel:DWORD dst_unused:UNUSED_PAD src0_sel:WORD_1 src1_sel:DWORD
	s_waitcnt lgkmcnt(4)
	v_lshrrev_b32_e32 v92, 16, v29
	v_fma_f16 v62, v63, v32, v62
	v_mul_f16_sdwa v32, v63, v32 dst_sel:DWORD dst_unused:UNUSED_PAD src0_sel:WORD_1 src1_sel:DWORD
	v_fma_f16 v32, v63, v90, -v32
	v_mul_f16_sdwa v63, v64, v92 dst_sel:DWORD dst_unused:UNUSED_PAD src0_sel:WORD_1 src1_sel:DWORD
	v_lshrrev_b32_e32 v94, 16, v30
	v_fma_f16 v63, v64, v29, v63
	v_mul_f16_sdwa v29, v64, v29 dst_sel:DWORD dst_unused:UNUSED_PAD src0_sel:WORD_1 src1_sel:DWORD
	v_fma_f16 v29, v64, v92, -v29
	v_mul_f16_sdwa v64, v65, v94 dst_sel:DWORD dst_unused:UNUSED_PAD src0_sel:WORD_1 src1_sel:DWORD
	s_waitcnt lgkmcnt(2)
	v_lshrrev_b32_e32 v96, 16, v27
	v_fma_f16 v64, v65, v30, v64
	v_mul_f16_sdwa v30, v65, v30 dst_sel:DWORD dst_unused:UNUSED_PAD src0_sel:WORD_1 src1_sel:DWORD
	v_fma_f16 v30, v65, v94, -v30
	;; [unrolled: 11-line block ×3, first 2 shown]
	v_mul_f16_sdwa v68, v69, v100 dst_sel:DWORD dst_unused:UNUSED_PAD src0_sel:WORD_1 src1_sel:DWORD
	v_lshrrev_b32_e32 v102, 16, v26
	v_fma_f16 v68, v69, v25, v68
	v_mul_f16_sdwa v25, v69, v25 dst_sel:DWORD dst_unused:UNUSED_PAD src0_sel:WORD_1 src1_sel:DWORD
	v_fma_f16 v25, v69, v100, -v25
	v_mul_f16_sdwa v69, v67, v102 dst_sel:DWORD dst_unused:UNUSED_PAD src0_sel:WORD_1 src1_sel:DWORD
	v_fma_f16 v69, v67, v26, v69
	v_mul_f16_sdwa v26, v67, v26 dst_sel:DWORD dst_unused:UNUSED_PAD src0_sel:WORD_1 src1_sel:DWORD
	v_fma_f16 v26, v67, v102, -v26
	v_mul_f16_sdwa v67, v70, v35 dst_sel:DWORD dst_unused:UNUSED_PAD src0_sel:WORD_1 src1_sel:DWORD
	v_lshrrev_b32_e32 v58, 16, v23
	v_fma_f16 v67, v70, v34, v67
	v_mul_f16_sdwa v34, v70, v34 dst_sel:DWORD dst_unused:UNUSED_PAD src0_sel:WORD_1 src1_sel:DWORD
	v_lshrrev_b32_e32 v89, 16, v24
	v_fma_f16 v34, v70, v35, -v34
	v_sub_f16_e32 v35, v23, v103
	v_sub_f16_e32 v31, v58, v31
	v_lshrrev_b32_e32 v91, 16, v21
	v_fma_f16 v23, v23, 2.0, -v35
	v_fma_f16 v58, v58, 2.0, -v31
	v_sub_f16_e32 v62, v24, v62
	v_sub_f16_e32 v32, v89, v32
	v_lshrrev_b32_e32 v93, 16, v22
	v_fma_f16 v24, v24, 2.0, -v62
	v_fma_f16 v70, v89, 2.0, -v32
	v_sub_f16_e32 v63, v21, v63
	v_sub_f16_e32 v29, v91, v29
	v_pack_b32_f16 v23, v23, v58
	v_pack_b32_f16 v31, v35, v31
	v_lshrrev_b32_e32 v95, 16, v19
	v_fma_f16 v21, v21, 2.0, -v63
	v_fma_f16 v88, v91, 2.0, -v29
	v_sub_f16_e32 v64, v22, v64
	v_sub_f16_e32 v30, v93, v30
	s_barrier
	ds_write2_b32 v71, v23, v31 offset1:17
	v_pack_b32_f16 v23, v24, v70
	v_pack_b32_f16 v24, v62, v32
	v_lshrrev_b32_e32 v97, 16, v20
	v_fma_f16 v22, v22, 2.0, -v64
	v_fma_f16 v89, v93, 2.0, -v30
	v_sub_f16_e32 v65, v19, v65
	v_sub_f16_e32 v27, v95, v27
	ds_write2_b32 v72, v23, v24 offset1:17
	v_pack_b32_f16 v21, v21, v88
	v_pack_b32_f16 v23, v63, v29
	v_lshrrev_b32_e32 v99, 16, v17
	v_fma_f16 v19, v19, 2.0, -v65
	v_fma_f16 v90, v95, 2.0, -v27
	v_sub_f16_e32 v66, v20, v66
	v_sub_f16_e32 v28, v97, v28
	;; [unrolled: 8-line block ×3, first 2 shown]
	ds_write2_b32 v74, v21, v22 offset1:17
	v_pack_b32_f16 v19, v19, v90
	v_pack_b32_f16 v21, v65, v27
	v_fma_f16 v92, v17, 2.0, -v68
	v_fma_f16 v93, v99, 2.0, -v25
	v_sub_f16_e32 v69, v18, v69
	v_sub_f16_e32 v26, v101, v26
	ds_write2_b32 v75, v19, v21 offset1:17
	v_pack_b32_f16 v19, v20, v91
	v_pack_b32_f16 v20, v66, v28
	v_fma_f16 v94, v18, 2.0, -v69
	v_fma_f16 v95, v101, 2.0, -v26
	ds_write2_b32 v76, v19, v20 offset1:17
	v_pack_b32_f16 v19, v92, v93
	v_pack_b32_f16 v20, v68, v25
	v_sub_f16_e32 v17, v36, v67
	v_sub_f16_e32 v18, v57, v34
	ds_write2_b32 v77, v19, v20 offset1:17
	v_pack_b32_f16 v19, v94, v95
	v_pack_b32_f16 v20, v69, v26
	ds_write2_b32 v78, v19, v20 offset1:17
	s_and_saveexec_b64 s[0:1], s[2:3]
	s_cbranch_execz .LBB0_13
; %bb.12:
	v_fma_f16 v19, v36, 2.0, -v17
	v_fma_f16 v20, v57, 2.0, -v18
	v_mad_legacy_u16 v21, v60, 34, v61
	s_mov_b32 s4, 0x5040100
	v_lshl_add_u32 v21, v21, 2, v56
	v_pack_b32_f16 v19, v19, v20
	v_perm_b32 v20, v18, v17, s4
	ds_write2_b32 v21, v19, v20 offset1:17
.LBB0_13:
	s_or_b64 exec, exec, s[0:1]
	s_waitcnt lgkmcnt(0)
	s_barrier
	ds_read2_b32 v[25:26], v37 offset1:68
	ds_read2_b32 v[22:23], v37 offset0:136 offset1:204
	v_add_u32_e32 v19, 0x400, v37
	ds_read2_b32 v[27:28], v19 offset0:16 offset1:84
	ds_read2_b32 v[29:30], v19 offset0:152 offset1:220
	s_waitcnt lgkmcnt(3)
	v_lshrrev_b32_e32 v24, 16, v26
	v_mul_f16_sdwa v76, v0, v24 dst_sel:DWORD dst_unused:UNUSED_PAD src0_sel:WORD_1 src1_sel:DWORD
	s_waitcnt lgkmcnt(2)
	v_lshrrev_b32_e32 v36, 16, v22
	v_fma_f16 v76, v0, v26, v76
	v_mul_f16_sdwa v26, v0, v26 dst_sel:DWORD dst_unused:UNUSED_PAD src0_sel:WORD_1 src1_sel:DWORD
	v_fma_f16 v26, v0, v24, -v26
	v_mul_f16_sdwa v0, v1, v36 dst_sel:DWORD dst_unused:UNUSED_PAD src0_sel:WORD_1 src1_sel:DWORD
	v_lshrrev_b32_e32 v58, 16, v23
	v_fma_f16 v77, v1, v22, v0
	v_mul_f16_sdwa v0, v1, v22 dst_sel:DWORD dst_unused:UNUSED_PAD src0_sel:WORD_1 src1_sel:DWORD
	v_fma_f16 v36, v1, v36, -v0
	v_mul_f16_sdwa v0, v2, v58 dst_sel:DWORD dst_unused:UNUSED_PAD src0_sel:WORD_1 src1_sel:DWORD
	s_waitcnt lgkmcnt(1)
	v_lshrrev_b32_e32 v62, 16, v27
	v_fma_f16 v78, v2, v23, v0
	v_mul_f16_sdwa v0, v2, v23 dst_sel:DWORD dst_unused:UNUSED_PAD src0_sel:WORD_1 src1_sel:DWORD
	v_fma_f16 v58, v2, v58, -v0
	v_mul_f16_sdwa v0, v3, v62 dst_sel:DWORD dst_unused:UNUSED_PAD src0_sel:WORD_1 src1_sel:DWORD
	v_add_u32_e32 v20, 0x800, v37
	v_lshrrev_b32_e32 v63, 16, v28
	v_fma_f16 v88, v3, v27, v0
	v_mul_f16_sdwa v0, v3, v27 dst_sel:DWORD dst_unused:UNUSED_PAD src0_sel:WORD_1 src1_sel:DWORD
	ds_read2_b32 v[31:32], v20 offset0:32 offset1:100
	v_fma_f16 v27, v3, v62, -v0
	v_mul_f16_sdwa v0, v4, v63 dst_sel:DWORD dst_unused:UNUSED_PAD src0_sel:WORD_1 src1_sel:DWORD
	s_waitcnt lgkmcnt(1)
	v_lshrrev_b32_e32 v64, 16, v29
	v_fma_f16 v62, v4, v28, v0
	v_mul_f16_sdwa v0, v4, v28 dst_sel:DWORD dst_unused:UNUSED_PAD src0_sel:WORD_1 src1_sel:DWORD
	v_fma_f16 v28, v4, v63, -v0
	v_mul_f16_sdwa v0, v5, v64 dst_sel:DWORD dst_unused:UNUSED_PAD src0_sel:WORD_1 src1_sel:DWORD
	v_lshrrev_b32_e32 v65, 16, v30
	v_fma_f16 v23, v5, v29, v0
	v_mul_f16_sdwa v0, v5, v29 dst_sel:DWORD dst_unused:UNUSED_PAD src0_sel:WORD_1 src1_sel:DWORD
	ds_read2_b32 v[34:35], v20 offset0:168 offset1:236
	v_fma_f16 v24, v5, v64, -v0
	v_mul_f16_sdwa v0, v6, v65 dst_sel:DWORD dst_unused:UNUSED_PAD src0_sel:WORD_1 src1_sel:DWORD
	s_waitcnt lgkmcnt(1)
	v_lshrrev_b32_e32 v66, 16, v31
	v_fma_f16 v22, v6, v30, v0
	v_mul_f16_sdwa v0, v6, v30 dst_sel:DWORD dst_unused:UNUSED_PAD src0_sel:WORD_1 src1_sel:DWORD
	v_fma_f16 v6, v6, v65, -v0
	v_mul_f16_sdwa v0, v7, v66 dst_sel:DWORD dst_unused:UNUSED_PAD src0_sel:WORD_1 src1_sel:DWORD
	v_lshrrev_b32_e32 v67, 16, v32
	v_add_u32_e32 v21, 0xc00, v37
	v_fma_f16 v2, v7, v31, v0
	v_mul_f16_sdwa v0, v7, v31 dst_sel:DWORD dst_unused:UNUSED_PAD src0_sel:WORD_1 src1_sel:DWORD
	ds_read2_b32 v[56:57], v21 offset0:48 offset1:116
	v_fma_f16 v3, v7, v66, -v0
	v_mul_f16_sdwa v0, v8, v67 dst_sel:DWORD dst_unused:UNUSED_PAD src0_sel:WORD_1 src1_sel:DWORD
	s_waitcnt lgkmcnt(1)
	v_lshrrev_b32_e32 v68, 16, v34
	v_fma_f16 v4, v8, v32, v0
	v_mul_f16_sdwa v0, v8, v32 dst_sel:DWORD dst_unused:UNUSED_PAD src0_sel:WORD_1 src1_sel:DWORD
	v_fma_f16 v5, v8, v67, -v0
	v_mul_f16_sdwa v0, v9, v68 dst_sel:DWORD dst_unused:UNUSED_PAD src0_sel:WORD_1 src1_sel:DWORD
	v_lshrrev_b32_e32 v69, 16, v35
	v_fma_f16 v7, v9, v34, v0
	v_mul_f16_sdwa v0, v9, v34 dst_sel:DWORD dst_unused:UNUSED_PAD src0_sel:WORD_1 src1_sel:DWORD
	ds_read2_b32 v[60:61], v21 offset0:184 offset1:252
	v_fma_f16 v8, v9, v68, -v0
	v_mul_f16_sdwa v0, v10, v69 dst_sel:DWORD dst_unused:UNUSED_PAD src0_sel:WORD_1 src1_sel:DWORD
	s_waitcnt lgkmcnt(1)
	v_lshrrev_b32_e32 v71, 16, v56
	v_fma_f16 v9, v10, v35, v0
	v_mul_f16_sdwa v0, v10, v35 dst_sel:DWORD dst_unused:UNUSED_PAD src0_sel:WORD_1 src1_sel:DWORD
	v_fma_f16 v10, v10, v69, -v0
	v_mul_f16_sdwa v0, v11, v71 dst_sel:DWORD dst_unused:UNUSED_PAD src0_sel:WORD_1 src1_sel:DWORD
	v_lshrrev_b32_e32 v72, 16, v57
	v_fma_f16 v29, v11, v56, v0
	v_mul_f16_sdwa v0, v11, v56 dst_sel:DWORD dst_unused:UNUSED_PAD src0_sel:WORD_1 src1_sel:DWORD
	ds_read_b32 v70, v37 offset:4352
	v_fma_f16 v11, v11, v71, -v0
	v_mul_f16_sdwa v0, v12, v72 dst_sel:DWORD dst_unused:UNUSED_PAD src0_sel:WORD_1 src1_sel:DWORD
	s_waitcnt lgkmcnt(1)
	v_lshrrev_b32_e32 v73, 16, v60
	v_fma_f16 v30, v12, v57, v0
	v_mul_f16_sdwa v0, v12, v57 dst_sel:DWORD dst_unused:UNUSED_PAD src0_sel:WORD_1 src1_sel:DWORD
	v_fma_f16 v12, v12, v72, -v0
	v_mul_f16_sdwa v0, v13, v73 dst_sel:DWORD dst_unused:UNUSED_PAD src0_sel:WORD_1 src1_sel:DWORD
	v_lshrrev_b32_e32 v74, 16, v61
	v_fma_f16 v31, v13, v60, v0
	v_mul_f16_sdwa v0, v13, v60 dst_sel:DWORD dst_unused:UNUSED_PAD src0_sel:WORD_1 src1_sel:DWORD
	v_fma_f16 v13, v13, v73, -v0
	v_mul_f16_sdwa v0, v14, v74 dst_sel:DWORD dst_unused:UNUSED_PAD src0_sel:WORD_1 src1_sel:DWORD
	s_waitcnt lgkmcnt(0)
	v_lshrrev_b32_e32 v75, 16, v70
	v_fma_f16 v32, v14, v61, v0
	v_mul_f16_sdwa v0, v14, v61 dst_sel:DWORD dst_unused:UNUSED_PAD src0_sel:WORD_1 src1_sel:DWORD
	v_fma_f16 v14, v14, v74, -v0
	v_mul_f16_sdwa v0, v15, v75 dst_sel:DWORD dst_unused:UNUSED_PAD src0_sel:WORD_1 src1_sel:DWORD
	v_fma_f16 v34, v15, v70, v0
	v_mul_f16_sdwa v0, v15, v70 dst_sel:DWORD dst_unused:UNUSED_PAD src0_sel:WORD_1 src1_sel:DWORD
	v_add_f16_sdwa v1, v25, v26 dst_sel:DWORD dst_unused:UNUSED_PAD src0_sel:WORD_1 src1_sel:DWORD
	v_fma_f16 v15, v15, v75, -v0
	v_add_f16_e32 v0, v25, v76
	v_add_f16_e32 v1, v1, v36
	;; [unrolled: 1-line block ×31, first 2 shown]
	v_sub_f16_e32 v15, v26, v15
	v_add_f16_e32 v0, v0, v34
	v_add_f16_e32 v35, v76, v34
	v_sub_f16_e32 v34, v76, v34
	s_mov_b32 s18, 0xb5c8
	v_mul_f16_e32 v26, 0xb5c8, v15
	s_movk_i32 s19, 0x3b76
	v_mul_f16_e32 v60, 0x3b76, v56
	s_movk_i32 s20, 0x35c8
	s_mov_b32 s14, 0xb964
	v_mul_f16_e32 v63, 0xb964, v15
	s_movk_i32 s15, 0x39e9
	v_mul_f16_e32 v65, 0x39e9, v56
	s_movk_i32 s16, 0x3964
	;; [unrolled: 5-line block ×4, first 2 shown]
	s_mov_b32 s17, 0xbbb2
	v_mul_f16_e32 v75, 0xbbb2, v15
	s_mov_b32 s21, 0xb461
	v_mul_f16_e32 v89, 0xb461, v56
	s_movk_i32 s22, 0x3bb2
	s_mov_b32 s23, 0xba62
	v_mul_f16_e32 v91, 0xba62, v15
	s_mov_b32 s24, 0xb8d2
	v_mul_f16_e32 v93, 0xb8d2, v56
	s_movk_i32 s25, 0x3a62
	;; [unrolled: 5-line block ×4, first 2 shown]
	v_fma_f16 v57, v35, s19, v26
	v_fma_f16 v61, v34, s20, v60
	v_fma_f16 v26, v35, s19, -v26
	v_fma_f16 v60, v34, s18, v60
	v_fma_f16 v64, v35, s15, v63
	v_fma_f16 v66, v34, s16, v65
	v_fma_f16 v63, v35, s15, -v63
	v_fma_f16 v65, v34, s14, v65
	;; [unrolled: 4-line block ×8, first 2 shown]
	v_add_f16_e32 v35, v36, v14
	v_sub_f16_e32 v14, v36, v14
	v_add_f16_e32 v57, v25, v57
	v_add_f16_sdwa v61, v25, v61 dst_sel:DWORD dst_unused:UNUSED_PAD src0_sel:WORD_1 src1_sel:DWORD
	v_add_f16_e32 v26, v25, v26
	v_add_f16_sdwa v60, v25, v60 dst_sel:DWORD dst_unused:UNUSED_PAD src0_sel:WORD_1 src1_sel:DWORD
	;; [unrolled: 2-line block ×16, first 2 shown]
	v_add_f16_e32 v34, v77, v32
	v_mul_f16_e32 v36, 0xb964, v14
	v_fma_f16 v56, v34, s15, v36
	v_sub_f16_e32 v32, v77, v32
	v_add_f16_e32 v56, v56, v57
	v_mul_f16_e32 v57, 0x39e9, v35
	v_fma_f16 v36, v34, s15, -v36
	v_fma_f16 v77, v32, s16, v57
	v_add_f16_e32 v26, v36, v26
	v_fma_f16 v36, v32, s14, v57
	v_mul_f16_e32 v57, 0xbbf7, v14
	v_add_f16_e32 v36, v36, v60
	v_fma_f16 v60, v34, s1, v57
	v_add_f16_e32 v60, v60, v64
	v_mul_f16_e32 v64, 0x2de8, v35
	v_fma_f16 v57, v34, s1, -v57
	v_add_f16_e32 v61, v77, v61
	v_fma_f16 v77, v32, s4, v64
	v_add_f16_e32 v57, v57, v63
	v_fma_f16 v63, v32, s0, v64
	v_mul_f16_e32 v64, 0xba62, v14
	v_add_f16_e32 v63, v63, v65
	v_fma_f16 v65, v34, s24, v64
	v_add_f16_e32 v65, v65, v68
	v_mul_f16_e32 v68, 0xb8d2, v35
	v_fma_f16 v64, v34, s24, -v64
	v_add_f16_e32 v66, v77, v66
	;; [unrolled: 10-line block ×4, first 2 shown]
	v_fma_f16 v77, v32, s26, v76
	v_add_f16_e32 v72, v72, v75
	v_fma_f16 v75, v32, s28, v76
	v_mul_f16_e32 v76, 0x3bb2, v14
	v_add_f16_e32 v77, v77, v90
	v_add_f16_e32 v75, v75, v89
	v_fma_f16 v89, v34, s21, v76
	v_mul_f16_e32 v90, 0xb461, v35
	v_fma_f16 v76, v34, s21, -v76
	v_add_f16_e32 v89, v89, v92
	v_fma_f16 v92, v32, s17, v90
	v_add_f16_e32 v76, v76, v91
	v_fma_f16 v90, v32, s22, v90
	v_mul_f16_e32 v91, 0x3b29, v14
	v_add_f16_e32 v92, v92, v94
	v_add_f16_e32 v90, v90, v93
	v_fma_f16 v93, v34, s12, v91
	v_mul_f16_e32 v94, 0x3722, v35
	v_fma_f16 v91, v34, s12, -v91
	v_mul_f16_e32 v14, 0x35c8, v14
	v_add_f16_e32 v93, v93, v96
	v_fma_f16 v96, v32, s5, v94
	v_add_f16_e32 v91, v91, v95
	v_fma_f16 v94, v32, s13, v94
	v_fma_f16 v95, v34, s19, v14
	v_mul_f16_e32 v35, 0x3b76, v35
	v_fma_f16 v14, v34, s19, -v14
	v_add_f16_e32 v94, v94, v97
	v_fma_f16 v97, v32, s18, v35
	v_add_f16_e32 v14, v14, v15
	v_fma_f16 v15, v32, s20, v35
	v_add_f16_e32 v32, v58, v13
	v_sub_f16_e32 v13, v58, v13
	v_add_f16_e32 v15, v15, v25
	v_add_f16_e32 v25, v78, v31
	v_mul_f16_e32 v34, 0xbb29, v13
	v_fma_f16 v35, v25, s12, v34
	v_sub_f16_e32 v31, v78, v31
	v_add_f16_e32 v35, v35, v56
	v_mul_f16_e32 v56, 0x3722, v32
	v_fma_f16 v34, v25, s12, -v34
	v_add_f16_e32 v26, v34, v26
	v_fma_f16 v34, v31, s5, v56
	v_add_f16_e32 v34, v34, v36
	v_mul_f16_e32 v36, 0xba62, v13
	v_fma_f16 v58, v31, s13, v56
	v_fma_f16 v56, v25, s24, v36
	v_add_f16_e32 v56, v56, v60
	v_mul_f16_e32 v60, 0xb8d2, v32
	v_fma_f16 v36, v25, s24, -v36
	v_add_f16_e32 v58, v58, v61
	v_fma_f16 v61, v31, s25, v60
	v_add_f16_e32 v36, v36, v57
	v_fma_f16 v57, v31, s23, v60
	v_mul_f16_e32 v60, 0x31e1, v13
	v_add_f16_e32 v57, v57, v63
	v_fma_f16 v63, v25, s30, v60
	v_add_f16_e32 v63, v63, v65
	v_mul_f16_e32 v65, 0xbbdd, v32
	v_fma_f16 v60, v25, s30, -v60
	v_add_f16_e32 v61, v61, v66
	v_fma_f16 v66, v31, s29, v65
	v_add_f16_e32 v60, v60, v64
	v_fma_f16 v64, v31, s31, v65
	v_mul_f16_e32 v65, 0x3bb2, v13
	v_add_f16_e32 v64, v64, v67
	;; [unrolled: 10-line block ×4, first 2 shown]
	v_add_f16_e32 v72, v72, v75
	v_fma_f16 v75, v25, s19, v73
	v_mul_f16_e32 v77, 0x3b76, v32
	v_fma_f16 v73, v25, s19, -v73
	v_fma_f16 v78, v31, s20, v77
	v_add_f16_e32 v73, v73, v76
	v_fma_f16 v76, v31, s18, v77
	v_mul_f16_e32 v77, 0xbbf7, v13
	v_add_f16_e32 v75, v75, v89
	v_fma_f16 v89, v25, s1, v77
	v_fma_f16 v77, v25, s1, -v77
	v_mul_f16_e32 v13, 0xb836, v13
	v_add_f16_e32 v76, v76, v90
	v_mul_f16_e32 v90, 0x2de8, v32
	v_add_f16_e32 v77, v77, v91
	v_fma_f16 v91, v25, s27, v13
	v_mul_f16_e32 v32, 0xbacd, v32
	v_fma_f16 v13, v25, s27, -v13
	v_add_f16_e32 v13, v13, v14
	v_fma_f16 v14, v31, s26, v32
	v_add_f16_e32 v25, v27, v12
	v_sub_f16_e32 v12, v27, v12
	v_add_f16_e32 v14, v14, v15
	v_add_f16_e32 v15, v88, v30
	v_mul_f16_e32 v27, 0xbbf7, v12
	v_add_f16_e32 v78, v78, v92
	v_add_f16_e32 v89, v89, v93
	v_fma_f16 v92, v31, s4, v90
	v_fma_f16 v90, v31, s0, v90
	;; [unrolled: 1-line block ×3, first 2 shown]
	v_sub_f16_e32 v30, v88, v30
	v_fma_f16 v31, v15, s1, v27
	v_mul_f16_e32 v32, 0x2de8, v25
	v_fma_f16 v27, v15, s1, -v27
	v_add_f16_e32 v31, v31, v35
	v_fma_f16 v35, v30, s4, v32
	v_add_f16_e32 v26, v27, v26
	v_fma_f16 v27, v30, s0, v32
	v_mul_f16_e32 v32, 0xb1e1, v12
	v_add_f16_e32 v27, v27, v34
	v_fma_f16 v34, v15, s30, v32
	v_add_f16_e32 v34, v34, v56
	v_mul_f16_e32 v56, 0xbbdd, v25
	v_fma_f16 v32, v15, s30, -v32
	v_add_f16_e32 v35, v35, v58
	v_fma_f16 v58, v30, s31, v56
	v_add_f16_e32 v32, v32, v36
	v_fma_f16 v36, v30, s29, v56
	v_mul_f16_e32 v56, 0x3bb2, v12
	v_add_f16_e32 v58, v58, v61
	v_add_f16_e32 v36, v36, v57
	v_fma_f16 v57, v15, s21, v56
	v_mul_f16_e32 v61, 0xb461, v25
	v_fma_f16 v56, v15, s21, -v56
	v_add_f16_e32 v57, v57, v63
	v_fma_f16 v63, v30, s17, v61
	v_add_f16_e32 v56, v56, v60
	v_fma_f16 v60, v30, s22, v61
	v_mul_f16_e32 v61, 0x35c8, v12
	v_add_f16_e32 v63, v63, v66
	v_add_f16_e32 v60, v60, v64
	v_fma_f16 v64, v15, s19, v61
	;; [unrolled: 10-line block ×5, first 2 shown]
	v_mul_f16_e32 v78, 0xb8d2, v25
	v_fma_f16 v74, v15, s24, -v74
	v_mul_f16_e32 v12, 0x3964, v12
	v_fma_f16 v88, v30, s23, v78
	v_add_f16_e32 v74, v74, v77
	v_fma_f16 v77, v30, s25, v78
	v_fma_f16 v78, v15, s15, v12
	v_mul_f16_e32 v25, 0x39e9, v25
	v_fma_f16 v12, v15, s15, -v12
	v_add_f16_e32 v12, v12, v13
	v_fma_f16 v13, v30, s16, v25
	v_add_f16_e32 v15, v28, v11
	v_sub_f16_e32 v11, v28, v11
	v_add_f16_e32 v13, v13, v14
	v_add_f16_e32 v14, v62, v29
	v_mul_f16_e32 v28, 0xbbb2, v11
	v_add_f16_e32 v76, v76, v89
	v_fma_f16 v89, v30, s14, v25
	v_sub_f16_e32 v25, v62, v29
	v_fma_f16 v29, v14, s21, v28
	v_mul_f16_e32 v30, 0xb461, v15
	v_fma_f16 v28, v14, s21, -v28
	v_add_f16_e32 v26, v28, v26
	v_fma_f16 v28, v25, s17, v30
	v_add_f16_e32 v27, v28, v27
	v_mul_f16_e32 v28, 0x3836, v11
	v_add_f16_e32 v29, v29, v31
	v_fma_f16 v31, v25, s22, v30
	v_fma_f16 v30, v14, s27, v28
	v_add_f16_e32 v30, v30, v34
	v_mul_f16_e32 v34, 0xbacd, v15
	v_fma_f16 v28, v14, s27, -v28
	v_add_f16_e32 v31, v31, v35
	v_fma_f16 v35, v25, s26, v34
	v_add_f16_e32 v28, v28, v32
	v_fma_f16 v32, v25, s28, v34
	v_mul_f16_e32 v34, 0x3964, v11
	v_add_f16_e32 v32, v32, v36
	v_fma_f16 v36, v14, s15, v34
	v_add_f16_e32 v36, v36, v57
	v_mul_f16_e32 v57, 0x39e9, v15
	v_fma_f16 v34, v14, s15, -v34
	v_add_f16_e32 v35, v35, v58
	v_fma_f16 v58, v25, s14, v57
	v_add_f16_e32 v34, v34, v56
	v_fma_f16 v56, v25, s16, v57
	v_mul_f16_e32 v57, 0xbb29, v11
	v_add_f16_e32 v56, v56, v60
	v_fma_f16 v60, v14, s12, v57
	v_mul_f16_e32 v62, 0x3722, v15
	v_fma_f16 v57, v14, s12, -v57
	v_add_f16_e32 v58, v58, v63
	v_fma_f16 v63, v25, s13, v62
	v_add_f16_e32 v57, v57, v61
	v_fma_f16 v61, v25, s5, v62
	v_mul_f16_e32 v62, 0xb1e1, v11
	v_add_f16_e32 v60, v60, v64
	v_fma_f16 v64, v14, s30, v62
	v_fma_f16 v62, v14, s30, -v62
	v_add_f16_e32 v61, v61, v65
	v_mul_f16_e32 v65, 0xbbdd, v15
	v_add_f16_e32 v62, v62, v66
	v_mul_f16_e32 v66, 0x3bf7, v11
	v_add_f16_e32 v63, v63, v67
	v_add_f16_e32 v64, v64, v68
	v_fma_f16 v67, v25, s31, v65
	v_fma_f16 v65, v25, s29, v65
	v_fma_f16 v68, v14, s1, v66
	v_fma_f16 v66, v14, s1, -v66
	v_add_f16_e32 v65, v65, v69
	v_mul_f16_e32 v69, 0x2de8, v15
	v_add_f16_e32 v66, v66, v70
	v_mul_f16_e32 v70, 0xb5c8, v11
	v_add_f16_e32 v67, v67, v71
	v_add_f16_e32 v68, v68, v72
	v_fma_f16 v71, v25, s0, v69
	v_fma_f16 v69, v25, s4, v69
	;; [unrolled: 1-line block ×3, first 2 shown]
	v_fma_f16 v70, v14, s19, -v70
	v_mul_f16_e32 v11, 0xba62, v11
	v_add_f16_e32 v69, v69, v73
	v_mul_f16_e32 v73, 0x3b76, v15
	v_add_f16_e32 v70, v70, v74
	v_fma_f16 v74, v14, s24, v11
	v_mul_f16_e32 v15, 0xb8d2, v15
	v_fma_f16 v11, v14, s24, -v11
	v_add_f16_e32 v11, v11, v12
	v_fma_f16 v12, v25, s23, v15
	v_add_f16_e32 v14, v24, v10
	v_sub_f16_e32 v10, v24, v10
	v_add_f16_e32 v72, v72, v76
	v_fma_f16 v76, v25, s25, v15
	v_add_f16_e32 v12, v12, v13
	v_add_f16_e32 v13, v23, v9
	v_mul_f16_e32 v15, 0xba62, v10
	v_sub_f16_e32 v9, v23, v9
	v_fma_f16 v23, v13, s24, v15
	v_mul_f16_e32 v24, 0xb8d2, v14
	v_fma_f16 v15, v13, s24, -v15
	v_add_f16_e32 v71, v71, v75
	v_fma_f16 v75, v25, s20, v73
	v_fma_f16 v73, v25, s18, v73
	;; [unrolled: 1-line block ×3, first 2 shown]
	v_add_f16_e32 v15, v15, v26
	v_fma_f16 v24, v9, s23, v24
	v_mul_f16_e32 v26, 0x3bb2, v10
	v_add_f16_e32 v23, v23, v29
	v_add_f16_e32 v24, v24, v27
	v_fma_f16 v27, v13, s21, v26
	v_mul_f16_e32 v29, 0xb461, v14
	v_fma_f16 v26, v13, s21, -v26
	v_add_f16_e32 v27, v27, v30
	v_fma_f16 v30, v9, s17, v29
	v_add_f16_e32 v26, v26, v28
	v_fma_f16 v28, v9, s22, v29
	v_mul_f16_e32 v29, 0xb5c8, v10
	v_add_f16_e32 v25, v25, v31
	v_add_f16_e32 v28, v28, v32
	v_fma_f16 v31, v13, s19, v29
	v_mul_f16_e32 v32, 0x3b76, v14
	v_fma_f16 v29, v13, s19, -v29
	v_add_f16_e32 v30, v30, v35
	v_fma_f16 v35, v9, s20, v32
	;; [unrolled: 10-line block ×5, first 2 shown]
	v_add_f16_e32 v62, v62, v66
	v_fma_f16 v65, v9, s14, v65
	v_mul_f16_e32 v66, 0xb1e1, v10
	v_add_f16_e32 v64, v64, v68
	v_add_f16_e32 v65, v65, v69
	v_fma_f16 v68, v13, s30, v66
	v_mul_f16_e32 v69, 0xbbdd, v14
	v_mul_f16_e32 v14, 0x3722, v14
	v_add_f16_e32 v67, v67, v71
	v_add_f16_e32 v68, v68, v72
	v_fma_f16 v71, v9, s31, v69
	v_fma_f16 v66, v13, s30, -v66
	v_fma_f16 v69, v9, s29, v69
	v_mul_f16_e32 v10, 0x3b29, v10
	v_fma_f16 v72, v9, s5, v14
	v_fma_f16 v9, v9, s13, v14
	v_add_f16_e32 v66, v66, v70
	v_fma_f16 v70, v13, s12, v10
	v_fma_f16 v10, v13, s12, -v10
	v_add_f16_e32 v9, v9, v12
	v_add_f16_e32 v12, v6, v8
	v_sub_f16_e32 v6, v6, v8
	v_add_f16_e32 v10, v10, v11
	v_add_f16_e32 v11, v22, v7
	v_mul_f16_e32 v8, 0xb836, v6
	v_fma_f16 v13, v11, s27, v8
	v_fma_f16 v8, v11, s27, -v8
	v_sub_f16_e32 v7, v22, v7
	v_mul_f16_e32 v14, 0xbacd, v12
	v_add_f16_e32 v8, v8, v15
	v_mul_f16_e32 v15, 0x3b29, v6
	v_add_f16_e32 v13, v13, v23
	v_fma_f16 v22, v7, s28, v14
	v_fma_f16 v14, v7, s26, v14
	;; [unrolled: 1-line block ×3, first 2 shown]
	v_add_f16_e32 v14, v14, v24
	v_add_f16_e32 v24, v23, v27
	v_mul_f16_e32 v23, 0x3722, v12
	v_add_f16_e32 v22, v22, v25
	v_fma_f16 v25, v7, s5, v23
	v_fma_f16 v15, v11, s12, -v15
	v_fma_f16 v23, v7, s13, v23
	v_add_f16_e32 v15, v15, v26
	v_add_f16_e32 v26, v23, v28
	v_mul_f16_e32 v23, 0xbbf7, v6
	v_fma_f16 v27, v11, s1, v23
	v_mul_f16_e32 v28, 0x2de8, v12
	v_fma_f16 v23, v11, s1, -v23
	v_add_f16_e32 v29, v23, v29
	v_fma_f16 v23, v7, s0, v28
	v_add_f16_e32 v25, v25, v30
	v_fma_f16 v30, v7, s4, v28
	v_add_f16_e32 v28, v23, v32
	v_mul_f16_e32 v23, 0x3a62, v6
	v_add_f16_e32 v27, v27, v31
	v_fma_f16 v31, v11, s24, v23
	v_mul_f16_e32 v32, 0xb8d2, v12
	v_fma_f16 v23, v11, s24, -v23
	v_add_f16_e32 v34, v23, v34
	v_fma_f16 v23, v7, s25, v32
	v_add_f16_e32 v30, v30, v35
	v_fma_f16 v35, v7, s23, v32
	v_add_f16_e32 v32, v23, v56
	v_mul_f16_e32 v23, 0xb5c8, v6
	v_add_f16_e32 v31, v31, v36
	;; [unrolled: 10-line block ×3, first 2 shown]
	v_fma_f16 v60, v11, s30, v23
	v_mul_f16_e32 v61, 0xbbdd, v12
	v_fma_f16 v23, v11, s30, -v23
	v_add_f16_e32 v95, v95, v99
	v_add_f16_e32 v90, v90, v94
	;; [unrolled: 1-line block ×3, first 2 shown]
	v_fma_f16 v23, v7, s29, v61
	v_add_f16_e32 v91, v91, v95
	v_add_f16_e32 v77, v77, v90
	;; [unrolled: 1-line block ×3, first 2 shown]
	v_fma_f16 v63, v7, s31, v61
	v_add_f16_e32 v61, v23, v65
	v_mul_f16_e32 v23, 0x3964, v6
	v_add_f16_e32 v78, v78, v91
	v_add_f16_e32 v73, v73, v77
	;; [unrolled: 1-line block ×3, first 2 shown]
	v_fma_f16 v64, v11, s15, v23
	v_mul_f16_e32 v65, 0x39e9, v12
	v_fma_f16 v23, v11, s15, -v23
	v_add_f16_e32 v74, v74, v78
	v_add_f16_e32 v69, v69, v73
	;; [unrolled: 1-line block ×3, first 2 shown]
	v_fma_f16 v23, v7, s16, v65
	v_mul_f16_e32 v6, 0xbbb2, v6
	v_add_f16_e32 v97, v97, v100
	v_add_f16_e32 v70, v70, v74
	;; [unrolled: 1-line block ×3, first 2 shown]
	v_fma_f16 v67, v7, s14, v65
	v_add_f16_e32 v65, v23, v69
	v_fma_f16 v23, v11, s21, v6
	v_mul_f16_e32 v12, 0xb461, v12
	v_fma_f16 v6, v11, s21, -v6
	v_add_f16_e32 v93, v93, v97
	v_add_f16_e32 v64, v64, v68
	;; [unrolled: 1-line block ×3, first 2 shown]
	v_fma_f16 v23, v7, s22, v12
	v_add_f16_e32 v6, v6, v10
	v_fma_f16 v7, v7, s17, v12
	v_add_f16_e32 v10, v3, v5
	v_sub_f16_e32 v3, v3, v5
	v_add_f16_e32 v89, v89, v93
	v_add_f16_e32 v7, v7, v9
	;; [unrolled: 1-line block ×3, first 2 shown]
	v_sub_f16_e32 v2, v2, v4
	v_mul_f16_e32 v4, 0xb1e1, v3
	v_mul_f16_e32 v11, 0xbbdd, v10
	v_add_f16_e32 v76, v76, v89
	v_fma_f16 v5, v9, s30, v4
	v_fma_f16 v12, v2, s31, v11
	v_fma_f16 v4, v9, s30, -v4
	v_add_f16_e32 v72, v72, v76
	v_add_f16_e32 v12, v12, v22
	;; [unrolled: 1-line block ×3, first 2 shown]
	v_fma_f16 v4, v2, s29, v11
	v_add_f16_e32 v69, v23, v72
	v_add_f16_e32 v23, v4, v14
	v_mul_f16_e32 v4, 0x35c8, v3
	v_fma_f16 v8, v9, s19, v4
	v_mul_f16_e32 v11, 0x3b76, v10
	v_add_f16_e32 v5, v5, v13
	v_add_f16_e32 v8, v8, v24
	v_fma_f16 v13, v2, s18, v11
	v_mul_f16_e32 v24, 0xbacd, v10
	v_add_f16_e32 v13, v13, v25
	v_fma_f16 v4, v9, s19, -v4
	v_mul_f16_e32 v14, 0xb836, v3
	v_fma_f16 v25, v2, s28, v24
	v_fma_f16 v24, v2, s26, v24
	v_add_f16_e32 v4, v4, v15
	v_fma_f16 v11, v2, s20, v11
	v_fma_f16 v15, v9, s27, v14
	v_fma_f16 v14, v9, s27, -v14
	v_add_f16_e32 v24, v24, v28
	v_mul_f16_e32 v28, 0x39e9, v10
	v_add_f16_e32 v11, v11, v26
	v_add_f16_e32 v14, v14, v29
	v_mul_f16_e32 v26, 0x3964, v3
	v_fma_f16 v29, v2, s14, v28
	v_fma_f16 v28, v2, s16, v28
	v_add_f16_e32 v96, v96, v98
	v_add_f16_e32 v15, v15, v27
	v_fma_f16 v27, v9, s15, v26
	v_fma_f16 v26, v9, s15, -v26
	v_add_f16_e32 v28, v28, v32
	v_mul_f16_e32 v32, 0xb8d2, v10
	v_add_f16_e32 v92, v92, v96
	v_add_f16_e32 v25, v25, v30
	;; [unrolled: 1-line block ×3, first 2 shown]
	v_mul_f16_e32 v30, 0xba62, v3
	v_fma_f16 v34, v2, s25, v32
	v_fma_f16 v32, v2, s23, v32
	v_add_f16_e32 v88, v88, v92
	v_add_f16_e32 v27, v27, v31
	v_fma_f16 v31, v9, s24, v30
	v_fma_f16 v30, v9, s24, -v30
	v_add_f16_e32 v32, v32, v56
	v_mul_f16_e32 v56, 0x3722, v10
	v_add_f16_e32 v75, v75, v88
	v_add_f16_e32 v29, v29, v35
	;; [unrolled: 1-line block ×3, first 2 shown]
	v_mul_f16_e32 v35, 0x3b29, v3
	v_fma_f16 v57, v2, s5, v56
	v_fma_f16 v56, v2, s13, v56
	v_add_f16_e32 v71, v71, v75
	v_add_f16_e32 v31, v31, v36
	;; [unrolled: 1-line block ×3, first 2 shown]
	v_fma_f16 v36, v9, s12, v35
	v_fma_f16 v35, v9, s12, -v35
	v_add_f16_e32 v56, v56, v61
	v_mul_f16_e32 v58, 0xbbb2, v3
	v_mul_f16_e32 v61, 0xb461, v10
	v_pack_b32_f16 v0, v0, v1
	v_pack_b32_f16 v1, v5, v12
	v_add_f16_e32 v67, v67, v71
	v_add_f16_e32 v36, v36, v60
	v_add_f16_e32 v35, v35, v62
	v_fma_f16 v60, v9, s21, v58
	v_fma_f16 v62, v2, s22, v61
	v_mul_f16_e32 v3, 0x3bf7, v3
	v_mul_f16_e32 v10, 0x2de8, v10
	s_barrier
	ds_write2_b32 v79, v0, v1 offset1:34
	v_pack_b32_f16 v0, v8, v13
	v_pack_b32_f16 v1, v15, v25
	v_add_f16_e32 v57, v57, v63
	v_add_f16_e32 v60, v60, v64
	;; [unrolled: 1-line block ×3, first 2 shown]
	v_fma_f16 v61, v2, s17, v61
	v_fma_f16 v63, v9, s1, v3
	;; [unrolled: 1-line block ×3, first 2 shown]
	v_fma_f16 v3, v9, s1, -v3
	v_fma_f16 v2, v2, s4, v10
	ds_write2_b32 v79, v0, v1 offset0:68 offset1:102
	v_pack_b32_f16 v0, v27, v29
	v_pack_b32_f16 v1, v31, v34
	v_fma_f16 v58, v9, s21, -v58
	v_add_f16_e32 v63, v63, v68
	v_add_f16_e32 v64, v64, v69
	;; [unrolled: 1-line block ×4, first 2 shown]
	ds_write2_b32 v79, v0, v1 offset0:136 offset1:170
	v_pack_b32_f16 v0, v36, v57
	v_pack_b32_f16 v1, v60, v62
	v_add_f16_e32 v58, v58, v66
	v_add_f16_e32 v61, v61, v65
	ds_write2_b32 v79, v0, v1 offset0:204 offset1:238
	v_pack_b32_f16 v0, v63, v64
	v_pack_b32_f16 v1, v3, v2
	v_add_u32_e32 v2, 0x400, v79
	ds_write2_b32 v2, v0, v1 offset0:16 offset1:50
	v_pack_b32_f16 v0, v58, v61
	v_pack_b32_f16 v1, v35, v56
	ds_write2_b32 v2, v0, v1 offset0:84 offset1:118
	v_pack_b32_f16 v0, v30, v32
	v_pack_b32_f16 v1, v26, v28
	;; [unrolled: 3-line block ×3, first 2 shown]
	ds_write2_b32 v2, v0, v1 offset0:220 offset1:254
	v_pack_b32_f16 v0, v22, v23
	ds_write_b32 v79, v0 offset:2176
	v_add_u32_e32 v0, 0xa00, v37
	s_waitcnt lgkmcnt(0)
	s_barrier
	ds_read2_b32 v[6:7], v37 offset1:68
	ds_read2_b32 v[14:15], v20 offset0:66 offset1:134
	ds_read2_b32 v[4:5], v37 offset0:136 offset1:204
	;; [unrolled: 1-line block ×6, first 2 shown]
	v_add_u32_e32 v8, 0xe00, v37
	ds_read2_b32 v[8:9], v8 offset0:90 offset1:158
	v_add_u32_e32 v21, 0x660, v37
	v_add_u32_e32 v20, 0x770, v37
	s_and_saveexec_b64 s[0:1], s[2:3]
	s_cbranch_execz .LBB0_15
; %bb.14:
	ds_read_b32 v22, v37 offset:2176
	ds_read_b32 v17, v37 offset:4488
	s_waitcnt lgkmcnt(1)
	v_lshrrev_b32_e32 v23, 16, v22
	s_waitcnt lgkmcnt(0)
	v_lshrrev_b32_e32 v18, 16, v17
.LBB0_15:
	s_or_b64 exec, exec, s[0:1]
	s_waitcnt lgkmcnt(6)
	v_lshrrev_b32_e32 v25, 16, v14
	v_mul_f16_sdwa v61, v80, v25 dst_sel:DWORD dst_unused:UNUSED_PAD src0_sel:WORD_1 src1_sel:DWORD
	v_lshrrev_b32_e32 v27, 16, v15
	v_fma_f16 v61, v80, v14, v61
	v_mul_f16_sdwa v14, v80, v14 dst_sel:DWORD dst_unused:UNUSED_PAD src0_sel:WORD_1 src1_sel:DWORD
	v_fma_f16 v14, v80, v25, -v14
	v_mul_f16_sdwa v25, v81, v27 dst_sel:DWORD dst_unused:UNUSED_PAD src0_sel:WORD_1 src1_sel:DWORD
	s_waitcnt lgkmcnt(4)
	v_lshrrev_b32_e32 v29, 16, v12
	v_fma_f16 v25, v81, v15, v25
	v_mul_f16_sdwa v15, v81, v15 dst_sel:DWORD dst_unused:UNUSED_PAD src0_sel:WORD_1 src1_sel:DWORD
	v_fma_f16 v15, v81, v27, -v15
	v_mul_f16_sdwa v27, v82, v29 dst_sel:DWORD dst_unused:UNUSED_PAD src0_sel:WORD_1 src1_sel:DWORD
	v_lshrrev_b32_e32 v31, 16, v13
	v_fma_f16 v27, v82, v12, v27
	v_mul_f16_sdwa v12, v82, v12 dst_sel:DWORD dst_unused:UNUSED_PAD src0_sel:WORD_1 src1_sel:DWORD
	v_fma_f16 v12, v82, v29, -v12
	v_mul_f16_sdwa v29, v83, v31 dst_sel:DWORD dst_unused:UNUSED_PAD src0_sel:WORD_1 src1_sel:DWORD
	s_waitcnt lgkmcnt(2)
	v_lshrrev_b32_e32 v34, 16, v10
	v_fma_f16 v29, v83, v13, v29
	v_mul_f16_sdwa v13, v83, v13 dst_sel:DWORD dst_unused:UNUSED_PAD src0_sel:WORD_1 src1_sel:DWORD
	v_fma_f16 v13, v83, v31, -v13
	;; [unrolled: 11-line block ×3, first 2 shown]
	v_mul_f16_sdwa v36, v86, v57 dst_sel:DWORD dst_unused:UNUSED_PAD src0_sel:WORD_1 src1_sel:DWORD
	v_lshrrev_b32_e32 v60, 16, v9
	v_fma_f16 v36, v86, v8, v36
	v_mul_f16_sdwa v8, v86, v8 dst_sel:DWORD dst_unused:UNUSED_PAD src0_sel:WORD_1 src1_sel:DWORD
	v_fma_f16 v8, v86, v57, -v8
	v_mul_f16_sdwa v57, v87, v60 dst_sel:DWORD dst_unused:UNUSED_PAD src0_sel:WORD_1 src1_sel:DWORD
	v_lshrrev_b32_e32 v24, 16, v6
	v_fma_f16 v57, v87, v9, v57
	v_mul_f16_sdwa v9, v87, v9 dst_sel:DWORD dst_unused:UNUSED_PAD src0_sel:WORD_1 src1_sel:DWORD
	v_fma_f16 v9, v87, v60, -v9
	v_sub_f16_e32 v60, v6, v61
	v_sub_f16_e32 v14, v24, v14
	v_lshrrev_b32_e32 v26, 16, v7
	v_fma_f16 v6, v6, 2.0, -v60
	v_fma_f16 v24, v24, 2.0, -v14
	v_lshrrev_b32_e32 v28, 16, v4
	v_sub_f16_e32 v25, v7, v25
	v_sub_f16_e32 v15, v26, v15
	v_pack_b32_f16 v6, v6, v24
	v_fma_f16 v7, v7, 2.0, -v25
	v_fma_f16 v26, v26, 2.0, -v15
	v_sub_f16_e32 v27, v4, v27
	v_sub_f16_e32 v12, v28, v12
	ds_write_b32 v37, v6
	v_pack_b32_f16 v6, v60, v14
	v_lshrrev_b32_e32 v30, 16, v5
	v_fma_f16 v4, v4, 2.0, -v27
	v_fma_f16 v28, v28, 2.0, -v12
	ds_write_b32 v33, v6 offset:2312
	v_pack_b32_f16 v6, v7, v26
	v_lshrrev_b32_e32 v32, 16, v2
	v_sub_f16_e32 v29, v5, v29
	v_sub_f16_e32 v13, v30, v13
	ds_write_b32 v37, v6 offset:272
	v_pack_b32_f16 v6, v25, v15
	v_pack_b32_f16 v4, v4, v28
	v_fma_f16 v5, v5, 2.0, -v29
	v_fma_f16 v30, v30, 2.0, -v13
	v_sub_f16_e32 v31, v2, v31
	v_sub_f16_e32 v10, v32, v10
	ds_write_b32 v33, v6 offset:2584
	ds_write_b32 v37, v4 offset:544
	v_pack_b32_f16 v4, v27, v12
	v_lshrrev_b32_e32 v35, 16, v3
	v_fma_f16 v2, v2, 2.0, -v31
	v_fma_f16 v32, v32, 2.0, -v10
	ds_write_b32 v33, v4 offset:2856
	v_pack_b32_f16 v4, v5, v30
	v_lshrrev_b32_e32 v56, 16, v0
	v_lshrrev_b32_e32 v58, 16, v1
	v_sub_f16_e32 v34, v3, v34
	v_sub_f16_e32 v11, v35, v11
	ds_write_b32 v37, v4 offset:816
	v_pack_b32_f16 v4, v29, v13
	v_pack_b32_f16 v2, v2, v32
	v_fma_f16 v3, v3, 2.0, -v34
	v_fma_f16 v35, v35, 2.0, -v11
	v_sub_f16_e32 v36, v0, v36
	v_sub_f16_e32 v8, v56, v8
	;; [unrolled: 1-line block ×4, first 2 shown]
	ds_write_b32 v33, v4 offset:3128
	ds_write_b32 v37, v2 offset:1088
	v_pack_b32_f16 v2, v31, v10
	v_fma_f16 v0, v0, 2.0, -v36
	v_fma_f16 v56, v56, 2.0, -v8
	;; [unrolled: 1-line block ×4, first 2 shown]
	ds_write_b32 v33, v2 offset:3400
	v_pack_b32_f16 v2, v3, v35
	ds_write_b32 v37, v2 offset:1360
	v_pack_b32_f16 v2, v34, v11
	v_pack_b32_f16 v0, v0, v56
	v_pack_b32_f16 v1, v1, v58
	ds_write_b32 v33, v2 offset:3672
	v_pack_b32_f16 v2, v36, v8
	ds_write2_b32 v19, v0, v1 offset0:152 offset1:220
	v_pack_b32_f16 v0, v57, v9
	ds_write_b32 v21, v2 offset:2312
	ds_write_b32 v20, v0 offset:2312
	s_and_saveexec_b64 s[0:1], s[2:3]
	s_cbranch_execz .LBB0_17
; %bb.16:
	v_mul_f16_sdwa v0, v59, v18 dst_sel:DWORD dst_unused:UNUSED_PAD src0_sel:WORD_1 src1_sel:DWORD
	v_mul_f16_sdwa v2, v59, v17 dst_sel:DWORD dst_unused:UNUSED_PAD src0_sel:WORD_1 src1_sel:DWORD
	v_fma_f16 v0, v59, v17, v0
	v_fma_f16 v2, v59, v18, -v2
	v_sub_f16_e32 v0, v22, v0
	v_sub_f16_e32 v2, v23, v2
	v_fma_f16 v1, v22, 2.0, -v0
	v_fma_f16 v3, v23, 2.0, -v2
	v_pack_b32_f16 v1, v1, v3
	v_pack_b32_f16 v0, v0, v2
	ds_write_b32 v37, v1 offset:2176
	ds_write_b32 v33, v0 offset:4488
.LBB0_17:
	s_or_b64 exec, exec, s[0:1]
	s_waitcnt lgkmcnt(0)
	s_barrier
	ds_read2_b32 v[0:1], v37 offset1:68
	s_mov_b32 s2, 0xd10d4986
	s_mov_b32 s3, 0x3f4c5894
	v_mad_u64_u32 v[4:5], s[0:1], s10, v16, 0
	s_waitcnt lgkmcnt(0)
	v_lshrrev_b32_e32 v7, 16, v0
	v_mul_f16_sdwa v2, v55, v7 dst_sel:DWORD dst_unused:UNUSED_PAD src0_sel:WORD_1 src1_sel:DWORD
	v_fma_f16 v2, v55, v0, v2
	v_cvt_f32_f16_e32 v2, v2
	s_movk_i32 s4, 0x1ff
	v_mad_u64_u32 v[5:6], s[0:1], s11, v16, v[5:6]
	v_cvt_f64_f32_e32 v[2:3], v2
	s_movk_i32 s5, 0xffe
	v_mul_f16_sdwa v0, v55, v0 dst_sel:DWORD dst_unused:UNUSED_PAD src0_sel:WORD_1 src1_sel:DWORD
	v_fma_f16 v0, v55, v7, -v0
	v_mul_f64 v[2:3], v[2:3], s[2:3]
	v_cvt_f32_f16_e32 v7, v0
	v_mov_b32_e32 v0, 0x7c00
	s_movk_i32 s10, 0x40f
	s_mov_b32 s11, 0x8000
	v_lshrrev_b32_e32 v11, 16, v1
	v_and_or_b32 v2, v3, s4, v2
	v_cmp_ne_u32_e32 vcc, 0, v2
	v_lshrrev_b32_e32 v6, 8, v3
	v_bfe_u32 v8, v3, 20, 11
	v_cndmask_b32_e64 v2, 0, 1, vcc
	v_sub_u32_e32 v9, 0x3f1, v8
	v_and_or_b32 v2, v6, s5, v2
	v_or_b32_e32 v6, 0x1000, v2
	v_med3_i32 v9, v9, 0, 13
	v_lshrrev_b32_e32 v10, v9, v6
	v_lshlrev_b32_e32 v9, v9, v10
	v_cmp_ne_u32_e32 vcc, v9, v6
	v_cndmask_b32_e64 v6, 0, 1, vcc
	v_add_u32_e32 v8, 0xfffffc10, v8
	v_or_b32_e32 v6, v10, v6
	v_lshl_or_b32 v9, v8, 12, v2
	v_cmp_gt_i32_e32 vcc, 1, v8
	v_cndmask_b32_e32 v6, v9, v6, vcc
	v_and_b32_e32 v9, 7, v6
	v_cmp_lt_i32_e32 vcc, 5, v9
	v_cmp_eq_u32_e64 s[0:1], 3, v9
	v_lshrrev_b32_e32 v6, 2, v6
	s_or_b64 vcc, s[0:1], vcc
	v_addc_co_u32_e32 v9, vcc, 0, v6, vcc
	v_cvt_f64_f32_e32 v[6:7], v7
	v_cmp_gt_i32_e32 vcc, 31, v8
	v_cndmask_b32_e32 v9, v0, v9, vcc
	v_cmp_ne_u32_e32 vcc, 0, v2
	v_mul_f64 v[6:7], v[6:7], s[2:3]
	v_cndmask_b32_e64 v2, 0, 1, vcc
	v_lshl_or_b32 v2, v2, 9, v0
	v_cmp_eq_u32_e32 vcc, s10, v8
	v_cndmask_b32_e32 v2, v9, v2, vcc
	v_lshrrev_b32_e32 v3, 16, v3
	v_and_or_b32 v8, v3, s11, v2
	v_and_b32_e32 v8, 0xffff, v8
	v_and_or_b32 v2, v7, s4, v6
	v_cmp_ne_u32_e32 vcc, 0, v2
	v_cndmask_b32_e64 v2, 0, 1, vcc
	v_lshrrev_b32_e32 v3, 8, v7
	v_bfe_u32 v6, v7, 20, 11
	v_and_or_b32 v2, v3, s5, v2
	v_sub_u32_e32 v9, 0x3f1, v6
	v_or_b32_e32 v3, 0x1000, v2
	v_med3_i32 v9, v9, 0, 13
	v_lshrrev_b32_e32 v10, v9, v3
	v_lshlrev_b32_e32 v9, v9, v10
	v_cmp_ne_u32_e32 vcc, v9, v3
	v_cndmask_b32_e64 v3, 0, 1, vcc
	v_add_u32_e32 v6, 0xfffffc10, v6
	v_or_b32_e32 v3, v10, v3
	v_lshl_or_b32 v9, v6, 12, v2
	v_cmp_gt_i32_e32 vcc, 1, v6
	v_cndmask_b32_e32 v3, v9, v3, vcc
	v_and_b32_e32 v9, 7, v3
	v_cmp_lt_i32_e32 vcc, 5, v9
	v_cmp_eq_u32_e64 s[0:1], 3, v9
	v_lshrrev_b32_e32 v3, 2, v3
	s_or_b64 vcc, s[0:1], vcc
	v_addc_co_u32_e32 v3, vcc, 0, v3, vcc
	v_cmp_gt_i32_e32 vcc, 31, v6
	v_cndmask_b32_e32 v9, v0, v3, vcc
	v_cmp_ne_u32_e32 vcc, 0, v2
	v_cndmask_b32_e64 v2, 0, 1, vcc
	v_lshl_or_b32 v10, v2, 9, v0
	v_mad_u64_u32 v[2:3], s[0:1], s8, v53, 0
	v_cmp_eq_u32_e32 vcc, s10, v6
	v_cndmask_b32_e32 v9, v9, v10, vcc
	v_lshrrev_b32_e32 v10, 16, v7
	v_mad_u64_u32 v[6:7], s[0:1], s9, v53, v[3:4]
	v_mul_f16_sdwa v3, v54, v11 dst_sel:DWORD dst_unused:UNUSED_PAD src0_sel:WORD_1 src1_sel:DWORD
	v_fma_f16 v3, v54, v1, v3
	v_cvt_f32_f16_e32 v7, v3
	v_mov_b32_e32 v3, v6
	v_lshlrev_b64 v[4:5], 2, v[4:5]
	v_and_or_b32 v9, v10, s11, v9
	v_cvt_f64_f32_e32 v[6:7], v7
	v_lshl_or_b32 v8, v9, 16, v8
	v_mov_b32_e32 v9, s7
	v_add_co_u32_e32 v4, vcc, s6, v4
	v_mul_f64 v[6:7], v[6:7], s[2:3]
	v_lshlrev_b64 v[2:3], 2, v[2:3]
	v_addc_co_u32_e32 v5, vcc, v9, v5, vcc
	v_add_co_u32_e32 v2, vcc, v4, v2
	v_addc_co_u32_e32 v3, vcc, v5, v3, vcc
	v_and_or_b32 v4, v7, s4, v6
	v_cmp_ne_u32_e32 vcc, 0, v4
	v_cndmask_b32_e64 v4, 0, 1, vcc
	v_lshrrev_b32_e32 v5, 8, v7
	v_and_or_b32 v6, v5, s5, v4
	v_bfe_u32 v5, v7, 20, 11
	global_store_dword v[2:3], v8, off
	v_sub_u32_e32 v8, 0x3f1, v5
	v_or_b32_e32 v4, 0x1000, v6
	v_med3_i32 v8, v8, 0, 13
	v_lshrrev_b32_e32 v9, v8, v4
	v_lshlrev_b32_e32 v8, v8, v9
	v_mul_f16_sdwa v1, v54, v1 dst_sel:DWORD dst_unused:UNUSED_PAD src0_sel:WORD_1 src1_sel:DWORD
	v_cmp_ne_u32_e32 vcc, v8, v4
	v_fma_f16 v1, v54, v11, -v1
	v_cndmask_b32_e64 v4, 0, 1, vcc
	v_add_u32_e32 v8, 0xfffffc10, v5
	v_cvt_f32_f16_e32 v1, v1
	v_or_b32_e32 v4, v9, v4
	v_lshl_or_b32 v5, v8, 12, v6
	v_cmp_gt_i32_e32 vcc, 1, v8
	v_cndmask_b32_e32 v4, v5, v4, vcc
	v_and_b32_e32 v5, 7, v4
	v_cmp_lt_i32_e32 vcc, 5, v5
	v_cmp_eq_u32_e64 s[0:1], 3, v5
	v_lshrrev_b32_e32 v9, 2, v4
	v_cvt_f64_f32_e32 v[4:5], v1
	s_or_b64 vcc, s[0:1], vcc
	v_addc_co_u32_e32 v1, vcc, 0, v9, vcc
	v_mul_f64 v[4:5], v[4:5], s[2:3]
	v_cmp_gt_i32_e32 vcc, 31, v8
	v_cndmask_b32_e32 v1, v0, v1, vcc
	v_cmp_ne_u32_e32 vcc, 0, v6
	v_cndmask_b32_e64 v6, 0, 1, vcc
	v_lshl_or_b32 v6, v6, 9, v0
	v_cmp_eq_u32_e32 vcc, s10, v8
	v_cndmask_b32_e32 v1, v1, v6, vcc
	v_and_or_b32 v4, v5, s4, v4
	v_lshrrev_b32_e32 v6, 16, v7
	v_cmp_ne_u32_e32 vcc, 0, v4
	v_and_or_b32 v1, v6, s11, v1
	v_cndmask_b32_e64 v4, 0, 1, vcc
	v_lshrrev_b32_e32 v6, 8, v5
	v_bfe_u32 v7, v5, 20, 11
	v_and_or_b32 v4, v6, s5, v4
	v_sub_u32_e32 v8, 0x3f1, v7
	v_or_b32_e32 v6, 0x1000, v4
	v_med3_i32 v8, v8, 0, 13
	v_lshrrev_b32_e32 v9, v8, v6
	v_lshlrev_b32_e32 v8, v8, v9
	v_cmp_ne_u32_e32 vcc, v8, v6
	v_cndmask_b32_e64 v6, 0, 1, vcc
	v_add_u32_e32 v8, 0xfffffc10, v7
	v_or_b32_e32 v6, v9, v6
	v_lshl_or_b32 v7, v8, 12, v4
	v_cmp_gt_i32_e32 vcc, 1, v8
	v_cndmask_b32_e32 v6, v7, v6, vcc
	v_and_b32_e32 v7, 7, v6
	v_cmp_lt_i32_e32 vcc, 5, v7
	v_cmp_eq_u32_e64 s[0:1], 3, v7
	v_lshrrev_b32_e32 v6, 2, v6
	s_or_b64 vcc, s[0:1], vcc
	v_addc_co_u32_e32 v6, vcc, 0, v6, vcc
	v_cmp_gt_i32_e32 vcc, 31, v8
	v_cndmask_b32_e32 v9, v0, v6, vcc
	ds_read2_b32 v[6:7], v37 offset0:136 offset1:204
	v_cmp_ne_u32_e32 vcc, 0, v4
	v_cndmask_b32_e64 v4, 0, 1, vcc
	v_lshl_or_b32 v4, v4, 9, v0
	v_cmp_eq_u32_e32 vcc, s10, v8
	s_waitcnt lgkmcnt(0)
	v_lshrrev_b32_e32 v8, 16, v6
	v_cndmask_b32_e32 v4, v9, v4, vcc
	v_mul_f16_sdwa v9, v52, v8 dst_sel:DWORD dst_unused:UNUSED_PAD src0_sel:WORD_1 src1_sel:DWORD
	v_fma_f16 v9, v52, v6, v9
	v_cvt_f32_f16_e32 v9, v9
	v_lshrrev_b32_e32 v5, 16, v5
	v_and_or_b32 v4, v5, s11, v4
	v_and_b32_e32 v1, 0xffff, v1
	v_lshl_or_b32 v10, v4, 16, v1
	v_cvt_f64_f32_e32 v[4:5], v9
	s_mul_i32 s0, s9, 0x110
	s_mul_hi_u32 s6, s8, 0x110
	s_add_i32 s6, s6, s0
	v_mul_f64 v[4:5], v[4:5], s[2:3]
	s_mul_i32 s7, s8, 0x110
	v_mov_b32_e32 v9, s6
	v_add_co_u32_e32 v1, vcc, s7, v2
	v_addc_co_u32_e32 v2, vcc, v3, v9, vcc
	global_store_dword v[1:2], v10, off
	v_and_or_b32 v3, v5, s4, v4
	v_cmp_ne_u32_e32 vcc, 0, v3
	v_cndmask_b32_e64 v3, 0, 1, vcc
	v_lshrrev_b32_e32 v4, 8, v5
	v_and_or_b32 v9, v4, s5, v3
	v_bfe_u32 v4, v5, 20, 11
	v_sub_u32_e32 v10, 0x3f1, v4
	v_or_b32_e32 v3, 0x1000, v9
	v_med3_i32 v10, v10, 0, 13
	v_lshrrev_b32_e32 v11, v10, v3
	v_lshlrev_b32_e32 v10, v10, v11
	v_mul_f16_sdwa v6, v52, v6 dst_sel:DWORD dst_unused:UNUSED_PAD src0_sel:WORD_1 src1_sel:DWORD
	v_cmp_ne_u32_e32 vcc, v10, v3
	v_fma_f16 v6, v52, v8, -v6
	v_cndmask_b32_e64 v3, 0, 1, vcc
	v_add_u32_e32 v10, 0xfffffc10, v4
	v_cvt_f32_f16_e32 v6, v6
	v_or_b32_e32 v3, v11, v3
	v_lshl_or_b32 v4, v10, 12, v9
	v_cmp_gt_i32_e32 vcc, 1, v10
	v_cndmask_b32_e32 v3, v4, v3, vcc
	v_and_b32_e32 v4, 7, v3
	v_cmp_lt_i32_e32 vcc, 5, v4
	v_cmp_eq_u32_e64 s[0:1], 3, v4
	v_lshrrev_b32_e32 v8, 2, v3
	v_cvt_f64_f32_e32 v[3:4], v6
	s_or_b64 vcc, s[0:1], vcc
	v_addc_co_u32_e32 v6, vcc, 0, v8, vcc
	v_mul_f64 v[3:4], v[3:4], s[2:3]
	v_cmp_gt_i32_e32 vcc, 31, v10
	v_cndmask_b32_e32 v6, v0, v6, vcc
	v_cmp_ne_u32_e32 vcc, 0, v9
	v_cndmask_b32_e64 v8, 0, 1, vcc
	v_lshl_or_b32 v8, v8, 9, v0
	v_cmp_eq_u32_e32 vcc, s10, v10
	v_cndmask_b32_e32 v6, v6, v8, vcc
	v_and_or_b32 v3, v4, s4, v3
	v_lshrrev_b32_e32 v5, 16, v5
	v_cmp_ne_u32_e32 vcc, 0, v3
	v_and_or_b32 v8, v5, s11, v6
	v_cndmask_b32_e64 v3, 0, 1, vcc
	v_lshrrev_b32_e32 v5, 8, v4
	v_bfe_u32 v6, v4, 20, 11
	v_and_or_b32 v3, v5, s5, v3
	v_sub_u32_e32 v9, 0x3f1, v6
	v_or_b32_e32 v5, 0x1000, v3
	v_med3_i32 v9, v9, 0, 13
	v_lshrrev_b32_e32 v10, v9, v5
	v_lshlrev_b32_e32 v9, v9, v10
	v_cmp_ne_u32_e32 vcc, v9, v5
	v_cndmask_b32_e64 v5, 0, 1, vcc
	v_add_u32_e32 v6, 0xfffffc10, v6
	v_or_b32_e32 v5, v10, v5
	v_lshl_or_b32 v9, v6, 12, v3
	v_cmp_gt_i32_e32 vcc, 1, v6
	v_cndmask_b32_e32 v5, v9, v5, vcc
	v_and_b32_e32 v9, 7, v5
	v_cmp_lt_i32_e32 vcc, 5, v9
	v_cmp_eq_u32_e64 s[0:1], 3, v9
	v_lshrrev_b32_e32 v9, 16, v7
	v_lshrrev_b32_e32 v5, 2, v5
	s_or_b64 vcc, s[0:1], vcc
	v_mul_f16_sdwa v10, v51, v9 dst_sel:DWORD dst_unused:UNUSED_PAD src0_sel:WORD_1 src1_sel:DWORD
	v_addc_co_u32_e32 v5, vcc, 0, v5, vcc
	v_fma_f16 v10, v51, v7, v10
	v_cmp_gt_i32_e32 vcc, 31, v6
	v_cvt_f32_f16_e32 v10, v10
	v_cndmask_b32_e32 v5, v0, v5, vcc
	v_cmp_ne_u32_e32 vcc, 0, v3
	v_cndmask_b32_e64 v3, 0, 1, vcc
	v_lshl_or_b32 v3, v3, 9, v0
	v_cmp_eq_u32_e32 vcc, s10, v6
	v_cndmask_b32_e32 v3, v5, v3, vcc
	v_cvt_f64_f32_e32 v[5:6], v10
	v_lshrrev_b32_e32 v4, 16, v4
	v_and_or_b32 v10, v4, s11, v3
	v_add_co_u32_e32 v1, vcc, s7, v1
	v_mul_f64 v[3:4], v[5:6], s[2:3]
	v_mov_b32_e32 v6, s6
	v_and_b32_e32 v8, 0xffff, v8
	v_addc_co_u32_e32 v2, vcc, v2, v6, vcc
	v_lshl_or_b32 v5, v10, 16, v8
	global_store_dword v[1:2], v5, off
	v_mul_f16_sdwa v7, v51, v7 dst_sel:DWORD dst_unused:UNUSED_PAD src0_sel:WORD_1 src1_sel:DWORD
	v_and_or_b32 v3, v4, s4, v3
	v_cmp_ne_u32_e32 vcc, 0, v3
	v_cndmask_b32_e64 v3, 0, 1, vcc
	v_lshrrev_b32_e32 v5, 8, v4
	v_bfe_u32 v6, v4, 20, 11
	v_and_or_b32 v3, v5, s5, v3
	v_sub_u32_e32 v8, 0x3f1, v6
	v_or_b32_e32 v5, 0x1000, v3
	v_med3_i32 v8, v8, 0, 13
	v_lshrrev_b32_e32 v10, v8, v5
	v_lshlrev_b32_e32 v8, v8, v10
	v_cmp_ne_u32_e32 vcc, v8, v5
	v_fma_f16 v7, v51, v9, -v7
	v_cndmask_b32_e64 v5, 0, 1, vcc
	v_add_u32_e32 v8, 0xfffffc10, v6
	v_cvt_f32_f16_e32 v7, v7
	v_or_b32_e32 v5, v10, v5
	v_lshl_or_b32 v6, v8, 12, v3
	v_cmp_gt_i32_e32 vcc, 1, v8
	v_cndmask_b32_e32 v5, v6, v5, vcc
	v_and_b32_e32 v6, 7, v5
	v_cmp_lt_i32_e32 vcc, 5, v6
	v_cmp_eq_u32_e64 s[0:1], 3, v6
	v_lshrrev_b32_e32 v9, 2, v5
	v_cvt_f64_f32_e32 v[5:6], v7
	s_or_b64 vcc, s[0:1], vcc
	v_addc_co_u32_e32 v7, vcc, 0, v9, vcc
	v_mul_f64 v[5:6], v[5:6], s[2:3]
	v_cmp_gt_i32_e32 vcc, 31, v8
	v_cndmask_b32_e32 v7, v0, v7, vcc
	v_cmp_ne_u32_e32 vcc, 0, v3
	v_cndmask_b32_e64 v3, 0, 1, vcc
	v_lshl_or_b32 v3, v3, 9, v0
	v_cmp_eq_u32_e32 vcc, s10, v8
	v_cndmask_b32_e32 v3, v7, v3, vcc
	v_lshrrev_b32_e32 v4, 16, v4
	v_and_or_b32 v9, v4, s11, v3
	v_and_or_b32 v3, v6, s4, v5
	v_cmp_ne_u32_e32 vcc, 0, v3
	v_cndmask_b32_e64 v3, 0, 1, vcc
	v_lshrrev_b32_e32 v4, 8, v6
	v_and_or_b32 v5, v4, s5, v3
	v_bfe_u32 v4, v6, 20, 11
	v_sub_u32_e32 v7, 0x3f1, v4
	v_or_b32_e32 v3, 0x1000, v5
	v_med3_i32 v7, v7, 0, 13
	v_lshrrev_b32_e32 v8, v7, v3
	v_lshlrev_b32_e32 v7, v7, v8
	v_cmp_ne_u32_e32 vcc, v7, v3
	v_cndmask_b32_e64 v3, 0, 1, vcc
	v_add_u32_e32 v7, 0xfffffc10, v4
	v_or_b32_e32 v3, v8, v3
	v_lshl_or_b32 v4, v7, 12, v5
	v_cmp_gt_i32_e32 vcc, 1, v7
	v_cndmask_b32_e32 v3, v4, v3, vcc
	v_and_b32_e32 v4, 7, v3
	v_cmp_lt_i32_e32 vcc, 5, v4
	v_cmp_eq_u32_e64 s[0:1], 3, v4
	v_lshrrev_b32_e32 v3, 2, v3
	s_or_b64 vcc, s[0:1], vcc
	v_add_u32_e32 v10, 0x400, v37
	v_addc_co_u32_e32 v8, vcc, 0, v3, vcc
	ds_read2_b32 v[3:4], v10 offset0:16 offset1:84
	v_cmp_gt_i32_e32 vcc, 31, v7
	v_cndmask_b32_e32 v8, v0, v8, vcc
	v_cmp_ne_u32_e32 vcc, 0, v5
	v_cndmask_b32_e64 v5, 0, 1, vcc
	s_waitcnt lgkmcnt(0)
	v_lshrrev_b32_e32 v11, 16, v3
	v_mul_f16_sdwa v12, v50, v11 dst_sel:DWORD dst_unused:UNUSED_PAD src0_sel:WORD_1 src1_sel:DWORD
	v_fma_f16 v12, v50, v3, v12
	v_cvt_f32_f16_e32 v12, v12
	v_lshl_or_b32 v5, v5, 9, v0
	v_cmp_eq_u32_e32 vcc, s10, v7
	v_cndmask_b32_e32 v5, v8, v5, vcc
	v_cvt_f64_f32_e32 v[7:8], v12
	v_lshrrev_b32_e32 v6, 16, v6
	v_and_or_b32 v12, v6, s11, v5
	v_add_co_u32_e32 v1, vcc, s7, v1
	v_mul_f64 v[5:6], v[7:8], s[2:3]
	v_mov_b32_e32 v8, s6
	v_and_b32_e32 v9, 0xffff, v9
	v_addc_co_u32_e32 v2, vcc, v2, v8, vcc
	v_lshl_or_b32 v7, v12, 16, v9
	global_store_dword v[1:2], v7, off
	v_mul_f16_sdwa v3, v50, v3 dst_sel:DWORD dst_unused:UNUSED_PAD src0_sel:WORD_1 src1_sel:DWORD
	v_and_or_b32 v5, v6, s4, v5
	v_cmp_ne_u32_e32 vcc, 0, v5
	v_cndmask_b32_e64 v5, 0, 1, vcc
	v_lshrrev_b32_e32 v7, 8, v6
	v_bfe_u32 v8, v6, 20, 11
	v_and_or_b32 v5, v7, s5, v5
	v_sub_u32_e32 v9, 0x3f1, v8
	v_or_b32_e32 v7, 0x1000, v5
	v_med3_i32 v9, v9, 0, 13
	v_lshrrev_b32_e32 v12, v9, v7
	v_lshlrev_b32_e32 v9, v9, v12
	v_cmp_ne_u32_e32 vcc, v9, v7
	v_fma_f16 v3, v50, v11, -v3
	v_cndmask_b32_e64 v7, 0, 1, vcc
	v_add_u32_e32 v9, 0xfffffc10, v8
	v_cvt_f32_f16_e32 v3, v3
	v_or_b32_e32 v7, v12, v7
	v_lshl_or_b32 v8, v9, 12, v5
	v_cmp_gt_i32_e32 vcc, 1, v9
	v_cndmask_b32_e32 v7, v8, v7, vcc
	v_and_b32_e32 v8, 7, v7
	v_cmp_lt_i32_e32 vcc, 5, v8
	v_cmp_eq_u32_e64 s[0:1], 3, v8
	v_lshrrev_b32_e32 v11, 2, v7
	v_cvt_f64_f32_e32 v[7:8], v3
	s_or_b64 vcc, s[0:1], vcc
	v_addc_co_u32_e32 v3, vcc, 0, v11, vcc
	v_mul_f64 v[7:8], v[7:8], s[2:3]
	v_cmp_gt_i32_e32 vcc, 31, v9
	v_cndmask_b32_e32 v3, v0, v3, vcc
	v_cmp_ne_u32_e32 vcc, 0, v5
	v_cndmask_b32_e64 v5, 0, 1, vcc
	v_lshl_or_b32 v5, v5, 9, v0
	v_cmp_eq_u32_e32 vcc, s10, v9
	v_cndmask_b32_e32 v3, v3, v5, vcc
	v_lshrrev_b32_e32 v5, 16, v6
	v_and_or_b32 v3, v5, s11, v3
	v_and_or_b32 v5, v8, s4, v7
	v_cmp_ne_u32_e32 vcc, 0, v5
	v_cndmask_b32_e64 v5, 0, 1, vcc
	v_lshrrev_b32_e32 v6, 8, v8
	v_bfe_u32 v7, v8, 20, 11
	v_and_or_b32 v5, v6, s5, v5
	v_sub_u32_e32 v9, 0x3f1, v7
	v_or_b32_e32 v6, 0x1000, v5
	v_med3_i32 v9, v9, 0, 13
	v_lshrrev_b32_e32 v11, v9, v6
	v_lshlrev_b32_e32 v9, v9, v11
	v_cmp_ne_u32_e32 vcc, v9, v6
	v_cndmask_b32_e64 v6, 0, 1, vcc
	v_add_u32_e32 v7, 0xfffffc10, v7
	v_or_b32_e32 v6, v11, v6
	v_lshl_or_b32 v9, v7, 12, v5
	v_cmp_gt_i32_e32 vcc, 1, v7
	v_cndmask_b32_e32 v6, v9, v6, vcc
	v_and_b32_e32 v9, 7, v6
	v_cmp_lt_i32_e32 vcc, 5, v9
	v_cmp_eq_u32_e64 s[0:1], 3, v9
	v_lshrrev_b32_e32 v9, 16, v4
	v_lshrrev_b32_e32 v6, 2, v6
	s_or_b64 vcc, s[0:1], vcc
	v_mul_f16_sdwa v11, v49, v9 dst_sel:DWORD dst_unused:UNUSED_PAD src0_sel:WORD_1 src1_sel:DWORD
	v_addc_co_u32_e32 v6, vcc, 0, v6, vcc
	v_fma_f16 v11, v49, v4, v11
	v_cmp_gt_i32_e32 vcc, 31, v7
	v_cvt_f32_f16_e32 v11, v11
	v_cndmask_b32_e32 v6, v0, v6, vcc
	v_cmp_ne_u32_e32 vcc, 0, v5
	v_cndmask_b32_e64 v5, 0, 1, vcc
	v_lshl_or_b32 v5, v5, 9, v0
	v_cmp_eq_u32_e32 vcc, s10, v7
	v_cndmask_b32_e32 v7, v6, v5, vcc
	v_cvt_f64_f32_e32 v[5:6], v11
	v_lshrrev_b32_e32 v8, 16, v8
	v_and_or_b32 v7, v8, s11, v7
	v_and_b32_e32 v3, 0xffff, v3
	v_mul_f64 v[5:6], v[5:6], s[2:3]
	v_lshl_or_b32 v3, v7, 16, v3
	v_mov_b32_e32 v7, s6
	v_add_co_u32_e32 v1, vcc, s7, v1
	v_addc_co_u32_e32 v2, vcc, v2, v7, vcc
	global_store_dword v[1:2], v3, off
	v_and_or_b32 v3, v6, s4, v5
	v_cmp_ne_u32_e32 vcc, 0, v3
	v_cndmask_b32_e64 v3, 0, 1, vcc
	v_lshrrev_b32_e32 v5, 8, v6
	v_bfe_u32 v7, v6, 20, 11
	v_and_or_b32 v5, v5, s5, v3
	v_sub_u32_e32 v8, 0x3f1, v7
	v_or_b32_e32 v3, 0x1000, v5
	v_med3_i32 v8, v8, 0, 13
	v_lshrrev_b32_e32 v11, v8, v3
	v_lshlrev_b32_e32 v8, v8, v11
	v_mul_f16_sdwa v4, v49, v4 dst_sel:DWORD dst_unused:UNUSED_PAD src0_sel:WORD_1 src1_sel:DWORD
	v_cmp_ne_u32_e32 vcc, v8, v3
	v_fma_f16 v4, v49, v9, -v4
	v_cndmask_b32_e64 v3, 0, 1, vcc
	v_add_u32_e32 v7, 0xfffffc10, v7
	v_cvt_f32_f16_e32 v4, v4
	v_or_b32_e32 v3, v11, v3
	v_lshl_or_b32 v8, v7, 12, v5
	v_cmp_gt_i32_e32 vcc, 1, v7
	v_cndmask_b32_e32 v3, v8, v3, vcc
	v_and_b32_e32 v8, 7, v3
	v_cmp_lt_i32_e32 vcc, 5, v8
	v_cmp_eq_u32_e64 s[0:1], 3, v8
	v_lshrrev_b32_e32 v8, 2, v3
	v_cvt_f64_f32_e32 v[3:4], v4
	s_or_b64 vcc, s[0:1], vcc
	v_addc_co_u32_e32 v8, vcc, 0, v8, vcc
	v_mul_f64 v[3:4], v[3:4], s[2:3]
	v_cmp_gt_i32_e32 vcc, 31, v7
	v_cndmask_b32_e32 v8, v0, v8, vcc
	v_cmp_ne_u32_e32 vcc, 0, v5
	v_cndmask_b32_e64 v5, 0, 1, vcc
	v_lshl_or_b32 v5, v5, 9, v0
	v_cmp_eq_u32_e32 vcc, s10, v7
	v_cndmask_b32_e32 v5, v8, v5, vcc
	v_and_or_b32 v3, v4, s4, v3
	v_lshrrev_b32_e32 v6, 16, v6
	v_cmp_ne_u32_e32 vcc, 0, v3
	v_and_or_b32 v9, v6, s11, v5
	v_cndmask_b32_e64 v3, 0, 1, vcc
	v_lshrrev_b32_e32 v5, 8, v4
	v_bfe_u32 v6, v4, 20, 11
	v_and_or_b32 v3, v5, s5, v3
	v_sub_u32_e32 v7, 0x3f1, v6
	v_or_b32_e32 v5, 0x1000, v3
	v_med3_i32 v7, v7, 0, 13
	v_lshrrev_b32_e32 v8, v7, v5
	v_lshlrev_b32_e32 v7, v7, v8
	v_cmp_ne_u32_e32 vcc, v7, v5
	v_cndmask_b32_e64 v5, 0, 1, vcc
	v_add_u32_e32 v7, 0xfffffc10, v6
	v_or_b32_e32 v5, v8, v5
	v_lshl_or_b32 v6, v7, 12, v3
	v_cmp_gt_i32_e32 vcc, 1, v7
	v_cndmask_b32_e32 v5, v6, v5, vcc
	v_and_b32_e32 v6, 7, v5
	v_cmp_lt_i32_e32 vcc, 5, v6
	v_cmp_eq_u32_e64 s[0:1], 3, v6
	v_lshrrev_b32_e32 v5, 2, v5
	s_or_b64 vcc, s[0:1], vcc
	v_addc_co_u32_e32 v8, vcc, 0, v5, vcc
	ds_read2_b32 v[5:6], v10 offset0:152 offset1:220
	v_cmp_gt_i32_e32 vcc, 31, v7
	v_cndmask_b32_e32 v8, v0, v8, vcc
	v_cmp_ne_u32_e32 vcc, 0, v3
	v_cndmask_b32_e64 v3, 0, 1, vcc
	s_waitcnt lgkmcnt(0)
	v_lshrrev_b32_e32 v10, 16, v5
	v_mul_f16_sdwa v11, v48, v10 dst_sel:DWORD dst_unused:UNUSED_PAD src0_sel:WORD_1 src1_sel:DWORD
	v_fma_f16 v11, v48, v5, v11
	v_cvt_f32_f16_e32 v11, v11
	v_lshl_or_b32 v3, v3, 9, v0
	v_cmp_eq_u32_e32 vcc, s10, v7
	v_cndmask_b32_e32 v3, v8, v3, vcc
	v_cvt_f64_f32_e32 v[7:8], v11
	v_lshrrev_b32_e32 v4, 16, v4
	v_and_or_b32 v11, v4, s11, v3
	v_add_co_u32_e32 v1, vcc, s7, v1
	v_mul_f64 v[3:4], v[7:8], s[2:3]
	v_mov_b32_e32 v8, s6
	v_and_b32_e32 v9, 0xffff, v9
	v_addc_co_u32_e32 v2, vcc, v2, v8, vcc
	v_lshl_or_b32 v7, v11, 16, v9
	global_store_dword v[1:2], v7, off
	v_mul_f16_sdwa v5, v48, v5 dst_sel:DWORD dst_unused:UNUSED_PAD src0_sel:WORD_1 src1_sel:DWORD
	v_and_or_b32 v3, v4, s4, v3
	v_cmp_ne_u32_e32 vcc, 0, v3
	v_cndmask_b32_e64 v3, 0, 1, vcc
	v_lshrrev_b32_e32 v7, 8, v4
	v_bfe_u32 v8, v4, 20, 11
	v_and_or_b32 v3, v7, s5, v3
	v_sub_u32_e32 v9, 0x3f1, v8
	v_or_b32_e32 v7, 0x1000, v3
	v_med3_i32 v9, v9, 0, 13
	v_lshrrev_b32_e32 v11, v9, v7
	v_lshlrev_b32_e32 v9, v9, v11
	v_cmp_ne_u32_e32 vcc, v9, v7
	v_fma_f16 v5, v48, v10, -v5
	v_cndmask_b32_e64 v7, 0, 1, vcc
	v_add_u32_e32 v9, 0xfffffc10, v8
	v_cvt_f32_f16_e32 v5, v5
	v_or_b32_e32 v7, v11, v7
	v_lshl_or_b32 v8, v9, 12, v3
	v_cmp_gt_i32_e32 vcc, 1, v9
	v_cndmask_b32_e32 v7, v8, v7, vcc
	v_and_b32_e32 v8, 7, v7
	v_cmp_lt_i32_e32 vcc, 5, v8
	v_cmp_eq_u32_e64 s[0:1], 3, v8
	v_lshrrev_b32_e32 v10, 2, v7
	v_cvt_f64_f32_e32 v[7:8], v5
	s_or_b64 vcc, s[0:1], vcc
	v_addc_co_u32_e32 v5, vcc, 0, v10, vcc
	v_mul_f64 v[7:8], v[7:8], s[2:3]
	v_cmp_gt_i32_e32 vcc, 31, v9
	v_cndmask_b32_e32 v5, v0, v5, vcc
	v_cmp_ne_u32_e32 vcc, 0, v3
	v_cndmask_b32_e64 v3, 0, 1, vcc
	v_lshl_or_b32 v3, v3, 9, v0
	v_cmp_eq_u32_e32 vcc, s10, v9
	v_cndmask_b32_e32 v3, v5, v3, vcc
	v_lshrrev_b32_e32 v4, 16, v4
	v_and_or_b32 v5, v4, s11, v3
	v_and_or_b32 v3, v8, s4, v7
	v_cmp_ne_u32_e32 vcc, 0, v3
	v_cndmask_b32_e64 v3, 0, 1, vcc
	v_lshrrev_b32_e32 v4, 8, v8
	v_bfe_u32 v7, v8, 20, 11
	v_and_or_b32 v3, v4, s5, v3
	v_sub_u32_e32 v9, 0x3f1, v7
	v_or_b32_e32 v4, 0x1000, v3
	v_med3_i32 v9, v9, 0, 13
	v_lshrrev_b32_e32 v10, v9, v4
	v_lshlrev_b32_e32 v9, v9, v10
	v_cmp_ne_u32_e32 vcc, v9, v4
	v_cndmask_b32_e64 v4, 0, 1, vcc
	v_add_u32_e32 v7, 0xfffffc10, v7
	v_or_b32_e32 v4, v10, v4
	v_lshl_or_b32 v9, v7, 12, v3
	v_cmp_gt_i32_e32 vcc, 1, v7
	v_cndmask_b32_e32 v4, v9, v4, vcc
	v_and_b32_e32 v9, 7, v4
	v_cmp_lt_i32_e32 vcc, 5, v9
	v_cmp_eq_u32_e64 s[0:1], 3, v9
	v_lshrrev_b32_e32 v9, 16, v6
	v_lshrrev_b32_e32 v4, 2, v4
	s_or_b64 vcc, s[0:1], vcc
	v_mul_f16_sdwa v10, v46, v9 dst_sel:DWORD dst_unused:UNUSED_PAD src0_sel:WORD_1 src1_sel:DWORD
	v_addc_co_u32_e32 v4, vcc, 0, v4, vcc
	v_fma_f16 v10, v46, v6, v10
	v_cmp_gt_i32_e32 vcc, 31, v7
	v_cvt_f32_f16_e32 v10, v10
	v_cndmask_b32_e32 v4, v0, v4, vcc
	v_cmp_ne_u32_e32 vcc, 0, v3
	v_cndmask_b32_e64 v3, 0, 1, vcc
	v_lshl_or_b32 v3, v3, 9, v0
	v_cmp_eq_u32_e32 vcc, s10, v7
	v_cndmask_b32_e32 v7, v4, v3, vcc
	v_cvt_f64_f32_e32 v[3:4], v10
	v_lshrrev_b32_e32 v8, 16, v8
	v_and_or_b32 v7, v8, s11, v7
	v_and_b32_e32 v5, 0xffff, v5
	v_mul_f64 v[3:4], v[3:4], s[2:3]
	v_lshl_or_b32 v5, v7, 16, v5
	v_mov_b32_e32 v7, s6
	v_add_co_u32_e32 v1, vcc, s7, v1
	v_addc_co_u32_e32 v2, vcc, v2, v7, vcc
	global_store_dword v[1:2], v5, off
	v_and_or_b32 v3, v4, s4, v3
	v_cmp_ne_u32_e32 vcc, 0, v3
	v_cndmask_b32_e64 v3, 0, 1, vcc
	v_lshrrev_b32_e32 v5, 8, v4
	v_bfe_u32 v7, v4, 20, 11
	v_and_or_b32 v3, v5, s5, v3
	v_sub_u32_e32 v8, 0x3f1, v7
	v_or_b32_e32 v5, 0x1000, v3
	v_med3_i32 v8, v8, 0, 13
	v_lshrrev_b32_e32 v10, v8, v5
	v_lshlrev_b32_e32 v8, v8, v10
	v_mul_f16_sdwa v6, v46, v6 dst_sel:DWORD dst_unused:UNUSED_PAD src0_sel:WORD_1 src1_sel:DWORD
	v_cmp_ne_u32_e32 vcc, v8, v5
	v_fma_f16 v6, v46, v9, -v6
	v_cndmask_b32_e64 v5, 0, 1, vcc
	v_add_u32_e32 v7, 0xfffffc10, v7
	v_cvt_f32_f16_e32 v6, v6
	v_or_b32_e32 v5, v10, v5
	v_lshl_or_b32 v8, v7, 12, v3
	v_cmp_gt_i32_e32 vcc, 1, v7
	v_cndmask_b32_e32 v5, v8, v5, vcc
	v_and_b32_e32 v8, 7, v5
	v_cmp_lt_i32_e32 vcc, 5, v8
	v_cmp_eq_u32_e64 s[0:1], 3, v8
	v_lshrrev_b32_e32 v8, 2, v5
	v_cvt_f64_f32_e32 v[5:6], v6
	s_or_b64 vcc, s[0:1], vcc
	v_addc_co_u32_e32 v8, vcc, 0, v8, vcc
	v_mul_f64 v[5:6], v[5:6], s[2:3]
	v_cmp_gt_i32_e32 vcc, 31, v7
	v_cndmask_b32_e32 v8, v0, v8, vcc
	v_cmp_ne_u32_e32 vcc, 0, v3
	v_cndmask_b32_e64 v3, 0, 1, vcc
	v_lshl_or_b32 v3, v3, 9, v0
	v_cmp_eq_u32_e32 vcc, s10, v7
	v_cndmask_b32_e32 v3, v8, v3, vcc
	v_lshrrev_b32_e32 v4, 16, v4
	v_and_or_b32 v9, v4, s11, v3
	v_and_or_b32 v3, v6, s4, v5
	v_cmp_ne_u32_e32 vcc, 0, v3
	v_cndmask_b32_e64 v3, 0, 1, vcc
	v_lshrrev_b32_e32 v4, 8, v6
	v_and_or_b32 v5, v4, s5, v3
	v_bfe_u32 v4, v6, 20, 11
	v_sub_u32_e32 v7, 0x3f1, v4
	v_or_b32_e32 v3, 0x1000, v5
	v_med3_i32 v7, v7, 0, 13
	v_lshrrev_b32_e32 v8, v7, v3
	v_lshlrev_b32_e32 v7, v7, v8
	v_cmp_ne_u32_e32 vcc, v7, v3
	v_cndmask_b32_e64 v3, 0, 1, vcc
	v_add_u32_e32 v7, 0xfffffc10, v4
	v_or_b32_e32 v3, v8, v3
	v_lshl_or_b32 v4, v7, 12, v5
	v_cmp_gt_i32_e32 vcc, 1, v7
	v_cndmask_b32_e32 v3, v4, v3, vcc
	v_and_b32_e32 v4, 7, v3
	v_cmp_lt_i32_e32 vcc, 5, v4
	v_cmp_eq_u32_e64 s[0:1], 3, v4
	v_lshrrev_b32_e32 v3, 2, v3
	s_or_b64 vcc, s[0:1], vcc
	v_add_u32_e32 v10, 0x800, v37
	v_addc_co_u32_e32 v8, vcc, 0, v3, vcc
	ds_read2_b32 v[3:4], v10 offset0:32 offset1:100
	v_cmp_gt_i32_e32 vcc, 31, v7
	v_cndmask_b32_e32 v8, v0, v8, vcc
	v_cmp_ne_u32_e32 vcc, 0, v5
	v_cndmask_b32_e64 v5, 0, 1, vcc
	s_waitcnt lgkmcnt(0)
	v_lshrrev_b32_e32 v11, 16, v3
	v_mul_f16_sdwa v12, v47, v11 dst_sel:DWORD dst_unused:UNUSED_PAD src0_sel:WORD_1 src1_sel:DWORD
	v_fma_f16 v12, v47, v3, v12
	v_cvt_f32_f16_e32 v12, v12
	v_lshl_or_b32 v5, v5, 9, v0
	v_cmp_eq_u32_e32 vcc, s10, v7
	v_cndmask_b32_e32 v5, v8, v5, vcc
	v_cvt_f64_f32_e32 v[7:8], v12
	v_lshrrev_b32_e32 v6, 16, v6
	v_and_or_b32 v12, v6, s11, v5
	v_add_co_u32_e32 v1, vcc, s7, v1
	v_mul_f64 v[5:6], v[7:8], s[2:3]
	v_mov_b32_e32 v8, s6
	v_and_b32_e32 v9, 0xffff, v9
	v_addc_co_u32_e32 v2, vcc, v2, v8, vcc
	v_lshl_or_b32 v7, v12, 16, v9
	global_store_dword v[1:2], v7, off
	v_mul_f16_sdwa v3, v47, v3 dst_sel:DWORD dst_unused:UNUSED_PAD src0_sel:WORD_1 src1_sel:DWORD
	v_and_or_b32 v5, v6, s4, v5
	v_cmp_ne_u32_e32 vcc, 0, v5
	v_cndmask_b32_e64 v5, 0, 1, vcc
	v_lshrrev_b32_e32 v7, 8, v6
	v_bfe_u32 v8, v6, 20, 11
	v_and_or_b32 v5, v7, s5, v5
	v_sub_u32_e32 v9, 0x3f1, v8
	v_or_b32_e32 v7, 0x1000, v5
	v_med3_i32 v9, v9, 0, 13
	v_lshrrev_b32_e32 v12, v9, v7
	v_lshlrev_b32_e32 v9, v9, v12
	v_cmp_ne_u32_e32 vcc, v9, v7
	v_fma_f16 v3, v47, v11, -v3
	v_cndmask_b32_e64 v7, 0, 1, vcc
	v_add_u32_e32 v9, 0xfffffc10, v8
	v_cvt_f32_f16_e32 v3, v3
	v_or_b32_e32 v7, v12, v7
	v_lshl_or_b32 v8, v9, 12, v5
	v_cmp_gt_i32_e32 vcc, 1, v9
	v_cndmask_b32_e32 v7, v8, v7, vcc
	v_and_b32_e32 v8, 7, v7
	v_cmp_lt_i32_e32 vcc, 5, v8
	v_cmp_eq_u32_e64 s[0:1], 3, v8
	v_lshrrev_b32_e32 v11, 2, v7
	v_cvt_f64_f32_e32 v[7:8], v3
	s_or_b64 vcc, s[0:1], vcc
	v_addc_co_u32_e32 v3, vcc, 0, v11, vcc
	v_mul_f64 v[7:8], v[7:8], s[2:3]
	v_cmp_gt_i32_e32 vcc, 31, v9
	v_cndmask_b32_e32 v3, v0, v3, vcc
	v_cmp_ne_u32_e32 vcc, 0, v5
	v_cndmask_b32_e64 v5, 0, 1, vcc
	v_lshl_or_b32 v5, v5, 9, v0
	v_cmp_eq_u32_e32 vcc, s10, v9
	v_cndmask_b32_e32 v3, v3, v5, vcc
	v_lshrrev_b32_e32 v5, 16, v6
	v_and_or_b32 v3, v5, s11, v3
	v_and_or_b32 v5, v8, s4, v7
	v_cmp_ne_u32_e32 vcc, 0, v5
	v_cndmask_b32_e64 v5, 0, 1, vcc
	v_lshrrev_b32_e32 v6, 8, v8
	v_bfe_u32 v7, v8, 20, 11
	v_and_or_b32 v5, v6, s5, v5
	v_sub_u32_e32 v9, 0x3f1, v7
	v_or_b32_e32 v6, 0x1000, v5
	v_med3_i32 v9, v9, 0, 13
	v_lshrrev_b32_e32 v11, v9, v6
	v_lshlrev_b32_e32 v9, v9, v11
	v_cmp_ne_u32_e32 vcc, v9, v6
	v_cndmask_b32_e64 v6, 0, 1, vcc
	v_add_u32_e32 v7, 0xfffffc10, v7
	v_or_b32_e32 v6, v11, v6
	v_lshl_or_b32 v9, v7, 12, v5
	v_cmp_gt_i32_e32 vcc, 1, v7
	v_cndmask_b32_e32 v6, v9, v6, vcc
	v_and_b32_e32 v9, 7, v6
	v_cmp_lt_i32_e32 vcc, 5, v9
	v_cmp_eq_u32_e64 s[0:1], 3, v9
	v_lshrrev_b32_e32 v9, 16, v4
	v_lshrrev_b32_e32 v6, 2, v6
	s_or_b64 vcc, s[0:1], vcc
	v_mul_f16_sdwa v11, v45, v9 dst_sel:DWORD dst_unused:UNUSED_PAD src0_sel:WORD_1 src1_sel:DWORD
	v_addc_co_u32_e32 v6, vcc, 0, v6, vcc
	v_fma_f16 v11, v45, v4, v11
	v_cmp_gt_i32_e32 vcc, 31, v7
	v_cvt_f32_f16_e32 v11, v11
	v_cndmask_b32_e32 v6, v0, v6, vcc
	v_cmp_ne_u32_e32 vcc, 0, v5
	v_cndmask_b32_e64 v5, 0, 1, vcc
	v_lshl_or_b32 v5, v5, 9, v0
	v_cmp_eq_u32_e32 vcc, s10, v7
	v_cndmask_b32_e32 v7, v6, v5, vcc
	v_cvt_f64_f32_e32 v[5:6], v11
	v_lshrrev_b32_e32 v8, 16, v8
	v_and_or_b32 v7, v8, s11, v7
	v_and_b32_e32 v3, 0xffff, v3
	v_mul_f64 v[5:6], v[5:6], s[2:3]
	v_lshl_or_b32 v3, v7, 16, v3
	v_mov_b32_e32 v7, s6
	v_add_co_u32_e32 v1, vcc, s7, v1
	v_addc_co_u32_e32 v2, vcc, v2, v7, vcc
	global_store_dword v[1:2], v3, off
	v_and_or_b32 v3, v6, s4, v5
	v_cmp_ne_u32_e32 vcc, 0, v3
	v_cndmask_b32_e64 v3, 0, 1, vcc
	v_lshrrev_b32_e32 v5, 8, v6
	v_bfe_u32 v7, v6, 20, 11
	v_and_or_b32 v5, v5, s5, v3
	v_sub_u32_e32 v8, 0x3f1, v7
	v_or_b32_e32 v3, 0x1000, v5
	v_med3_i32 v8, v8, 0, 13
	v_lshrrev_b32_e32 v11, v8, v3
	v_lshlrev_b32_e32 v8, v8, v11
	v_mul_f16_sdwa v4, v45, v4 dst_sel:DWORD dst_unused:UNUSED_PAD src0_sel:WORD_1 src1_sel:DWORD
	v_cmp_ne_u32_e32 vcc, v8, v3
	v_fma_f16 v4, v45, v9, -v4
	v_cndmask_b32_e64 v3, 0, 1, vcc
	v_add_u32_e32 v7, 0xfffffc10, v7
	v_cvt_f32_f16_e32 v4, v4
	v_or_b32_e32 v3, v11, v3
	v_lshl_or_b32 v8, v7, 12, v5
	v_cmp_gt_i32_e32 vcc, 1, v7
	v_cndmask_b32_e32 v3, v8, v3, vcc
	v_and_b32_e32 v8, 7, v3
	v_cmp_lt_i32_e32 vcc, 5, v8
	v_cmp_eq_u32_e64 s[0:1], 3, v8
	v_lshrrev_b32_e32 v8, 2, v3
	v_cvt_f64_f32_e32 v[3:4], v4
	s_or_b64 vcc, s[0:1], vcc
	v_addc_co_u32_e32 v8, vcc, 0, v8, vcc
	v_mul_f64 v[3:4], v[3:4], s[2:3]
	v_cmp_gt_i32_e32 vcc, 31, v7
	v_cndmask_b32_e32 v8, v0, v8, vcc
	v_cmp_ne_u32_e32 vcc, 0, v5
	v_cndmask_b32_e64 v5, 0, 1, vcc
	v_lshl_or_b32 v5, v5, 9, v0
	v_cmp_eq_u32_e32 vcc, s10, v7
	v_cndmask_b32_e32 v5, v8, v5, vcc
	v_and_or_b32 v3, v4, s4, v3
	v_lshrrev_b32_e32 v6, 16, v6
	v_cmp_ne_u32_e32 vcc, 0, v3
	v_and_or_b32 v9, v6, s11, v5
	v_cndmask_b32_e64 v3, 0, 1, vcc
	v_lshrrev_b32_e32 v5, 8, v4
	v_bfe_u32 v6, v4, 20, 11
	v_and_or_b32 v3, v5, s5, v3
	v_sub_u32_e32 v7, 0x3f1, v6
	v_or_b32_e32 v5, 0x1000, v3
	v_med3_i32 v7, v7, 0, 13
	v_lshrrev_b32_e32 v8, v7, v5
	v_lshlrev_b32_e32 v7, v7, v8
	v_cmp_ne_u32_e32 vcc, v7, v5
	v_cndmask_b32_e64 v5, 0, 1, vcc
	v_add_u32_e32 v7, 0xfffffc10, v6
	v_or_b32_e32 v5, v8, v5
	v_lshl_or_b32 v6, v7, 12, v3
	v_cmp_gt_i32_e32 vcc, 1, v7
	v_cndmask_b32_e32 v5, v6, v5, vcc
	v_and_b32_e32 v6, 7, v5
	v_cmp_lt_i32_e32 vcc, 5, v6
	v_cmp_eq_u32_e64 s[0:1], 3, v6
	v_lshrrev_b32_e32 v5, 2, v5
	s_or_b64 vcc, s[0:1], vcc
	v_addc_co_u32_e32 v8, vcc, 0, v5, vcc
	ds_read2_b32 v[5:6], v10 offset0:168 offset1:236
	v_cmp_gt_i32_e32 vcc, 31, v7
	v_cndmask_b32_e32 v8, v0, v8, vcc
	v_cmp_ne_u32_e32 vcc, 0, v3
	v_cndmask_b32_e64 v3, 0, 1, vcc
	s_waitcnt lgkmcnt(0)
	v_lshrrev_b32_e32 v10, 16, v5
	v_mul_f16_sdwa v11, v44, v10 dst_sel:DWORD dst_unused:UNUSED_PAD src0_sel:WORD_1 src1_sel:DWORD
	v_fma_f16 v11, v44, v5, v11
	v_cvt_f32_f16_e32 v11, v11
	v_lshl_or_b32 v3, v3, 9, v0
	v_cmp_eq_u32_e32 vcc, s10, v7
	v_cndmask_b32_e32 v3, v8, v3, vcc
	v_cvt_f64_f32_e32 v[7:8], v11
	v_lshrrev_b32_e32 v4, 16, v4
	v_and_or_b32 v11, v4, s11, v3
	v_add_co_u32_e32 v1, vcc, s7, v1
	v_mul_f64 v[3:4], v[7:8], s[2:3]
	v_mov_b32_e32 v8, s6
	v_and_b32_e32 v9, 0xffff, v9
	v_addc_co_u32_e32 v2, vcc, v2, v8, vcc
	v_lshl_or_b32 v7, v11, 16, v9
	global_store_dword v[1:2], v7, off
	v_mul_f16_sdwa v5, v44, v5 dst_sel:DWORD dst_unused:UNUSED_PAD src0_sel:WORD_1 src1_sel:DWORD
	v_and_or_b32 v3, v4, s4, v3
	v_cmp_ne_u32_e32 vcc, 0, v3
	v_cndmask_b32_e64 v3, 0, 1, vcc
	v_lshrrev_b32_e32 v7, 8, v4
	v_bfe_u32 v8, v4, 20, 11
	v_and_or_b32 v3, v7, s5, v3
	v_sub_u32_e32 v9, 0x3f1, v8
	v_or_b32_e32 v7, 0x1000, v3
	v_med3_i32 v9, v9, 0, 13
	v_lshrrev_b32_e32 v11, v9, v7
	v_lshlrev_b32_e32 v9, v9, v11
	v_cmp_ne_u32_e32 vcc, v9, v7
	v_fma_f16 v5, v44, v10, -v5
	v_cndmask_b32_e64 v7, 0, 1, vcc
	v_add_u32_e32 v9, 0xfffffc10, v8
	v_cvt_f32_f16_e32 v5, v5
	v_or_b32_e32 v7, v11, v7
	v_lshl_or_b32 v8, v9, 12, v3
	v_cmp_gt_i32_e32 vcc, 1, v9
	v_cndmask_b32_e32 v7, v8, v7, vcc
	v_and_b32_e32 v8, 7, v7
	v_cmp_lt_i32_e32 vcc, 5, v8
	v_cmp_eq_u32_e64 s[0:1], 3, v8
	v_lshrrev_b32_e32 v10, 2, v7
	v_cvt_f64_f32_e32 v[7:8], v5
	s_or_b64 vcc, s[0:1], vcc
	v_addc_co_u32_e32 v5, vcc, 0, v10, vcc
	v_mul_f64 v[7:8], v[7:8], s[2:3]
	v_cmp_gt_i32_e32 vcc, 31, v9
	v_cndmask_b32_e32 v5, v0, v5, vcc
	v_cmp_ne_u32_e32 vcc, 0, v3
	v_cndmask_b32_e64 v3, 0, 1, vcc
	v_lshl_or_b32 v3, v3, 9, v0
	v_cmp_eq_u32_e32 vcc, s10, v9
	v_cndmask_b32_e32 v3, v5, v3, vcc
	v_lshrrev_b32_e32 v4, 16, v4
	v_and_or_b32 v5, v4, s11, v3
	v_and_or_b32 v3, v8, s4, v7
	v_cmp_ne_u32_e32 vcc, 0, v3
	v_cndmask_b32_e64 v3, 0, 1, vcc
	v_lshrrev_b32_e32 v4, 8, v8
	v_bfe_u32 v7, v8, 20, 11
	v_and_or_b32 v3, v4, s5, v3
	v_sub_u32_e32 v9, 0x3f1, v7
	v_or_b32_e32 v4, 0x1000, v3
	v_med3_i32 v9, v9, 0, 13
	v_lshrrev_b32_e32 v10, v9, v4
	v_lshlrev_b32_e32 v9, v9, v10
	v_cmp_ne_u32_e32 vcc, v9, v4
	v_cndmask_b32_e64 v4, 0, 1, vcc
	v_add_u32_e32 v7, 0xfffffc10, v7
	v_or_b32_e32 v4, v10, v4
	v_lshl_or_b32 v9, v7, 12, v3
	v_cmp_gt_i32_e32 vcc, 1, v7
	v_cndmask_b32_e32 v4, v9, v4, vcc
	v_and_b32_e32 v9, 7, v4
	v_cmp_lt_i32_e32 vcc, 5, v9
	v_cmp_eq_u32_e64 s[0:1], 3, v9
	v_lshrrev_b32_e32 v9, 16, v6
	v_lshrrev_b32_e32 v4, 2, v4
	s_or_b64 vcc, s[0:1], vcc
	v_mul_f16_sdwa v10, v43, v9 dst_sel:DWORD dst_unused:UNUSED_PAD src0_sel:WORD_1 src1_sel:DWORD
	v_addc_co_u32_e32 v4, vcc, 0, v4, vcc
	v_fma_f16 v10, v43, v6, v10
	v_cmp_gt_i32_e32 vcc, 31, v7
	v_cvt_f32_f16_e32 v10, v10
	v_cndmask_b32_e32 v4, v0, v4, vcc
	v_cmp_ne_u32_e32 vcc, 0, v3
	v_cndmask_b32_e64 v3, 0, 1, vcc
	v_lshl_or_b32 v3, v3, 9, v0
	v_cmp_eq_u32_e32 vcc, s10, v7
	v_cndmask_b32_e32 v7, v4, v3, vcc
	v_cvt_f64_f32_e32 v[3:4], v10
	v_lshrrev_b32_e32 v8, 16, v8
	v_and_or_b32 v7, v8, s11, v7
	v_and_b32_e32 v5, 0xffff, v5
	v_mul_f64 v[3:4], v[3:4], s[2:3]
	v_lshl_or_b32 v5, v7, 16, v5
	v_mov_b32_e32 v7, s6
	v_add_co_u32_e32 v1, vcc, s7, v1
	v_addc_co_u32_e32 v2, vcc, v2, v7, vcc
	global_store_dword v[1:2], v5, off
	v_and_or_b32 v3, v4, s4, v3
	v_cmp_ne_u32_e32 vcc, 0, v3
	v_cndmask_b32_e64 v3, 0, 1, vcc
	v_lshrrev_b32_e32 v5, 8, v4
	v_bfe_u32 v7, v4, 20, 11
	v_and_or_b32 v3, v5, s5, v3
	v_sub_u32_e32 v8, 0x3f1, v7
	v_or_b32_e32 v5, 0x1000, v3
	v_med3_i32 v8, v8, 0, 13
	v_lshrrev_b32_e32 v10, v8, v5
	v_lshlrev_b32_e32 v8, v8, v10
	v_mul_f16_sdwa v6, v43, v6 dst_sel:DWORD dst_unused:UNUSED_PAD src0_sel:WORD_1 src1_sel:DWORD
	v_cmp_ne_u32_e32 vcc, v8, v5
	v_fma_f16 v6, v43, v9, -v6
	v_cndmask_b32_e64 v5, 0, 1, vcc
	v_add_u32_e32 v7, 0xfffffc10, v7
	v_cvt_f32_f16_e32 v6, v6
	v_or_b32_e32 v5, v10, v5
	v_lshl_or_b32 v8, v7, 12, v3
	v_cmp_gt_i32_e32 vcc, 1, v7
	v_cndmask_b32_e32 v5, v8, v5, vcc
	v_and_b32_e32 v8, 7, v5
	v_cmp_lt_i32_e32 vcc, 5, v8
	v_cmp_eq_u32_e64 s[0:1], 3, v8
	v_lshrrev_b32_e32 v8, 2, v5
	v_cvt_f64_f32_e32 v[5:6], v6
	s_or_b64 vcc, s[0:1], vcc
	v_addc_co_u32_e32 v8, vcc, 0, v8, vcc
	v_mul_f64 v[5:6], v[5:6], s[2:3]
	v_cmp_gt_i32_e32 vcc, 31, v7
	v_cndmask_b32_e32 v8, v0, v8, vcc
	v_cmp_ne_u32_e32 vcc, 0, v3
	v_cndmask_b32_e64 v3, 0, 1, vcc
	v_lshl_or_b32 v3, v3, 9, v0
	v_cmp_eq_u32_e32 vcc, s10, v7
	v_cndmask_b32_e32 v3, v8, v3, vcc
	v_lshrrev_b32_e32 v4, 16, v4
	v_and_or_b32 v9, v4, s11, v3
	v_and_or_b32 v3, v6, s4, v5
	v_cmp_ne_u32_e32 vcc, 0, v3
	v_cndmask_b32_e64 v3, 0, 1, vcc
	v_lshrrev_b32_e32 v4, 8, v6
	v_and_or_b32 v5, v4, s5, v3
	v_bfe_u32 v4, v6, 20, 11
	v_sub_u32_e32 v7, 0x3f1, v4
	v_or_b32_e32 v3, 0x1000, v5
	v_med3_i32 v7, v7, 0, 13
	v_lshrrev_b32_e32 v8, v7, v3
	v_lshlrev_b32_e32 v7, v7, v8
	v_cmp_ne_u32_e32 vcc, v7, v3
	v_cndmask_b32_e64 v3, 0, 1, vcc
	v_add_u32_e32 v7, 0xfffffc10, v4
	v_or_b32_e32 v3, v8, v3
	v_lshl_or_b32 v4, v7, 12, v5
	v_cmp_gt_i32_e32 vcc, 1, v7
	v_cndmask_b32_e32 v3, v4, v3, vcc
	v_and_b32_e32 v4, 7, v3
	v_cmp_lt_i32_e32 vcc, 5, v4
	v_cmp_eq_u32_e64 s[0:1], 3, v4
	v_lshrrev_b32_e32 v3, 2, v3
	s_or_b64 vcc, s[0:1], vcc
	v_add_u32_e32 v10, 0xc00, v37
	v_addc_co_u32_e32 v8, vcc, 0, v3, vcc
	ds_read2_b32 v[3:4], v10 offset0:48 offset1:116
	v_cmp_gt_i32_e32 vcc, 31, v7
	v_cndmask_b32_e32 v8, v0, v8, vcc
	v_cmp_ne_u32_e32 vcc, 0, v5
	v_cndmask_b32_e64 v5, 0, 1, vcc
	s_waitcnt lgkmcnt(0)
	v_lshrrev_b32_e32 v11, 16, v3
	v_mul_f16_sdwa v12, v42, v11 dst_sel:DWORD dst_unused:UNUSED_PAD src0_sel:WORD_1 src1_sel:DWORD
	v_fma_f16 v12, v42, v3, v12
	v_cvt_f32_f16_e32 v12, v12
	v_lshl_or_b32 v5, v5, 9, v0
	v_cmp_eq_u32_e32 vcc, s10, v7
	v_cndmask_b32_e32 v5, v8, v5, vcc
	v_cvt_f64_f32_e32 v[7:8], v12
	v_lshrrev_b32_e32 v6, 16, v6
	v_and_or_b32 v12, v6, s11, v5
	v_add_co_u32_e32 v1, vcc, s7, v1
	v_mul_f64 v[5:6], v[7:8], s[2:3]
	v_mov_b32_e32 v8, s6
	v_and_b32_e32 v9, 0xffff, v9
	v_addc_co_u32_e32 v2, vcc, v2, v8, vcc
	v_lshl_or_b32 v7, v12, 16, v9
	global_store_dword v[1:2], v7, off
	v_mul_f16_sdwa v3, v42, v3 dst_sel:DWORD dst_unused:UNUSED_PAD src0_sel:WORD_1 src1_sel:DWORD
	v_and_or_b32 v5, v6, s4, v5
	v_cmp_ne_u32_e32 vcc, 0, v5
	v_cndmask_b32_e64 v5, 0, 1, vcc
	v_lshrrev_b32_e32 v7, 8, v6
	v_bfe_u32 v8, v6, 20, 11
	v_and_or_b32 v5, v7, s5, v5
	v_sub_u32_e32 v9, 0x3f1, v8
	v_or_b32_e32 v7, 0x1000, v5
	v_med3_i32 v9, v9, 0, 13
	v_lshrrev_b32_e32 v12, v9, v7
	v_lshlrev_b32_e32 v9, v9, v12
	v_cmp_ne_u32_e32 vcc, v9, v7
	v_fma_f16 v3, v42, v11, -v3
	v_cndmask_b32_e64 v7, 0, 1, vcc
	v_add_u32_e32 v9, 0xfffffc10, v8
	v_cvt_f32_f16_e32 v3, v3
	v_or_b32_e32 v7, v12, v7
	v_lshl_or_b32 v8, v9, 12, v5
	v_cmp_gt_i32_e32 vcc, 1, v9
	v_cndmask_b32_e32 v7, v8, v7, vcc
	v_and_b32_e32 v8, 7, v7
	v_cmp_lt_i32_e32 vcc, 5, v8
	v_cmp_eq_u32_e64 s[0:1], 3, v8
	v_lshrrev_b32_e32 v11, 2, v7
	v_cvt_f64_f32_e32 v[7:8], v3
	s_or_b64 vcc, s[0:1], vcc
	v_addc_co_u32_e32 v3, vcc, 0, v11, vcc
	v_mul_f64 v[7:8], v[7:8], s[2:3]
	v_cmp_gt_i32_e32 vcc, 31, v9
	v_cndmask_b32_e32 v3, v0, v3, vcc
	v_cmp_ne_u32_e32 vcc, 0, v5
	v_cndmask_b32_e64 v5, 0, 1, vcc
	v_lshl_or_b32 v5, v5, 9, v0
	v_cmp_eq_u32_e32 vcc, s10, v9
	v_cndmask_b32_e32 v3, v3, v5, vcc
	v_lshrrev_b32_e32 v5, 16, v6
	v_and_or_b32 v3, v5, s11, v3
	v_and_or_b32 v5, v8, s4, v7
	v_cmp_ne_u32_e32 vcc, 0, v5
	v_cndmask_b32_e64 v5, 0, 1, vcc
	v_lshrrev_b32_e32 v6, 8, v8
	v_bfe_u32 v7, v8, 20, 11
	v_and_or_b32 v5, v6, s5, v5
	v_sub_u32_e32 v9, 0x3f1, v7
	v_or_b32_e32 v6, 0x1000, v5
	v_med3_i32 v9, v9, 0, 13
	v_lshrrev_b32_e32 v11, v9, v6
	v_lshlrev_b32_e32 v9, v9, v11
	v_cmp_ne_u32_e32 vcc, v9, v6
	v_cndmask_b32_e64 v6, 0, 1, vcc
	v_add_u32_e32 v7, 0xfffffc10, v7
	v_or_b32_e32 v6, v11, v6
	v_lshl_or_b32 v9, v7, 12, v5
	v_cmp_gt_i32_e32 vcc, 1, v7
	v_cndmask_b32_e32 v6, v9, v6, vcc
	v_and_b32_e32 v9, 7, v6
	v_cmp_lt_i32_e32 vcc, 5, v9
	v_cmp_eq_u32_e64 s[0:1], 3, v9
	v_lshrrev_b32_e32 v9, 16, v4
	v_lshrrev_b32_e32 v6, 2, v6
	s_or_b64 vcc, s[0:1], vcc
	v_mul_f16_sdwa v11, v41, v9 dst_sel:DWORD dst_unused:UNUSED_PAD src0_sel:WORD_1 src1_sel:DWORD
	v_addc_co_u32_e32 v6, vcc, 0, v6, vcc
	v_fma_f16 v11, v41, v4, v11
	v_cmp_gt_i32_e32 vcc, 31, v7
	v_cvt_f32_f16_e32 v11, v11
	v_cndmask_b32_e32 v6, v0, v6, vcc
	v_cmp_ne_u32_e32 vcc, 0, v5
	v_cndmask_b32_e64 v5, 0, 1, vcc
	v_lshl_or_b32 v5, v5, 9, v0
	v_cmp_eq_u32_e32 vcc, s10, v7
	v_cndmask_b32_e32 v7, v6, v5, vcc
	v_cvt_f64_f32_e32 v[5:6], v11
	v_lshrrev_b32_e32 v8, 16, v8
	v_and_or_b32 v7, v8, s11, v7
	v_and_b32_e32 v3, 0xffff, v3
	v_mul_f64 v[5:6], v[5:6], s[2:3]
	v_lshl_or_b32 v3, v7, 16, v3
	v_mov_b32_e32 v7, s6
	v_add_co_u32_e32 v1, vcc, s7, v1
	v_addc_co_u32_e32 v2, vcc, v2, v7, vcc
	global_store_dword v[1:2], v3, off
	v_and_or_b32 v3, v6, s4, v5
	v_cmp_ne_u32_e32 vcc, 0, v3
	v_cndmask_b32_e64 v3, 0, 1, vcc
	v_lshrrev_b32_e32 v5, 8, v6
	v_bfe_u32 v7, v6, 20, 11
	v_and_or_b32 v5, v5, s5, v3
	v_sub_u32_e32 v8, 0x3f1, v7
	v_or_b32_e32 v3, 0x1000, v5
	v_med3_i32 v8, v8, 0, 13
	v_lshrrev_b32_e32 v11, v8, v3
	v_lshlrev_b32_e32 v8, v8, v11
	v_mul_f16_sdwa v4, v41, v4 dst_sel:DWORD dst_unused:UNUSED_PAD src0_sel:WORD_1 src1_sel:DWORD
	v_cmp_ne_u32_e32 vcc, v8, v3
	v_fma_f16 v4, v41, v9, -v4
	v_cndmask_b32_e64 v3, 0, 1, vcc
	v_add_u32_e32 v7, 0xfffffc10, v7
	v_cvt_f32_f16_e32 v4, v4
	v_or_b32_e32 v3, v11, v3
	v_lshl_or_b32 v8, v7, 12, v5
	v_cmp_gt_i32_e32 vcc, 1, v7
	v_cndmask_b32_e32 v3, v8, v3, vcc
	v_and_b32_e32 v8, 7, v3
	v_cmp_lt_i32_e32 vcc, 5, v8
	v_cmp_eq_u32_e64 s[0:1], 3, v8
	v_lshrrev_b32_e32 v8, 2, v3
	v_cvt_f64_f32_e32 v[3:4], v4
	s_or_b64 vcc, s[0:1], vcc
	v_addc_co_u32_e32 v8, vcc, 0, v8, vcc
	v_mul_f64 v[3:4], v[3:4], s[2:3]
	v_cmp_gt_i32_e32 vcc, 31, v7
	v_cndmask_b32_e32 v8, v0, v8, vcc
	v_cmp_ne_u32_e32 vcc, 0, v5
	v_cndmask_b32_e64 v5, 0, 1, vcc
	v_lshl_or_b32 v5, v5, 9, v0
	v_cmp_eq_u32_e32 vcc, s10, v7
	v_cndmask_b32_e32 v5, v8, v5, vcc
	v_and_or_b32 v3, v4, s4, v3
	v_lshrrev_b32_e32 v6, 16, v6
	v_cmp_ne_u32_e32 vcc, 0, v3
	v_and_or_b32 v9, v6, s11, v5
	v_cndmask_b32_e64 v3, 0, 1, vcc
	v_lshrrev_b32_e32 v5, 8, v4
	v_bfe_u32 v6, v4, 20, 11
	v_and_or_b32 v3, v5, s5, v3
	v_sub_u32_e32 v7, 0x3f1, v6
	v_or_b32_e32 v5, 0x1000, v3
	v_med3_i32 v7, v7, 0, 13
	v_lshrrev_b32_e32 v8, v7, v5
	v_lshlrev_b32_e32 v7, v7, v8
	v_cmp_ne_u32_e32 vcc, v7, v5
	v_cndmask_b32_e64 v5, 0, 1, vcc
	v_add_u32_e32 v7, 0xfffffc10, v6
	v_or_b32_e32 v5, v8, v5
	v_lshl_or_b32 v6, v7, 12, v3
	v_cmp_gt_i32_e32 vcc, 1, v7
	v_cndmask_b32_e32 v5, v6, v5, vcc
	v_and_b32_e32 v6, 7, v5
	v_cmp_lt_i32_e32 vcc, 5, v6
	v_cmp_eq_u32_e64 s[0:1], 3, v6
	v_lshrrev_b32_e32 v5, 2, v5
	s_or_b64 vcc, s[0:1], vcc
	v_addc_co_u32_e32 v8, vcc, 0, v5, vcc
	ds_read2_b32 v[5:6], v10 offset0:184 offset1:252
	v_cmp_gt_i32_e32 vcc, 31, v7
	v_cndmask_b32_e32 v8, v0, v8, vcc
	v_cmp_ne_u32_e32 vcc, 0, v3
	v_cndmask_b32_e64 v3, 0, 1, vcc
	s_waitcnt lgkmcnt(0)
	v_lshrrev_b32_e32 v10, 16, v5
	v_mul_f16_sdwa v11, v40, v10 dst_sel:DWORD dst_unused:UNUSED_PAD src0_sel:WORD_1 src1_sel:DWORD
	v_fma_f16 v11, v40, v5, v11
	v_cvt_f32_f16_e32 v11, v11
	v_lshl_or_b32 v3, v3, 9, v0
	v_cmp_eq_u32_e32 vcc, s10, v7
	v_cndmask_b32_e32 v3, v8, v3, vcc
	v_cvt_f64_f32_e32 v[7:8], v11
	v_lshrrev_b32_e32 v4, 16, v4
	v_and_or_b32 v11, v4, s11, v3
	v_add_co_u32_e32 v1, vcc, s7, v1
	v_mul_f64 v[3:4], v[7:8], s[2:3]
	v_mov_b32_e32 v8, s6
	v_and_b32_e32 v9, 0xffff, v9
	v_addc_co_u32_e32 v2, vcc, v2, v8, vcc
	v_lshl_or_b32 v7, v11, 16, v9
	global_store_dword v[1:2], v7, off
	v_mul_f16_sdwa v5, v40, v5 dst_sel:DWORD dst_unused:UNUSED_PAD src0_sel:WORD_1 src1_sel:DWORD
	v_and_or_b32 v3, v4, s4, v3
	v_cmp_ne_u32_e32 vcc, 0, v3
	v_cndmask_b32_e64 v3, 0, 1, vcc
	v_lshrrev_b32_e32 v7, 8, v4
	v_bfe_u32 v8, v4, 20, 11
	v_and_or_b32 v3, v7, s5, v3
	v_sub_u32_e32 v9, 0x3f1, v8
	v_or_b32_e32 v7, 0x1000, v3
	v_med3_i32 v9, v9, 0, 13
	v_lshrrev_b32_e32 v11, v9, v7
	v_lshlrev_b32_e32 v9, v9, v11
	v_cmp_ne_u32_e32 vcc, v9, v7
	v_fma_f16 v5, v40, v10, -v5
	v_cndmask_b32_e64 v7, 0, 1, vcc
	v_add_u32_e32 v9, 0xfffffc10, v8
	v_cvt_f32_f16_e32 v5, v5
	v_or_b32_e32 v7, v11, v7
	v_lshl_or_b32 v8, v9, 12, v3
	v_cmp_gt_i32_e32 vcc, 1, v9
	v_cndmask_b32_e32 v7, v8, v7, vcc
	v_and_b32_e32 v8, 7, v7
	v_cmp_lt_i32_e32 vcc, 5, v8
	v_cmp_eq_u32_e64 s[0:1], 3, v8
	v_lshrrev_b32_e32 v10, 2, v7
	v_cvt_f64_f32_e32 v[7:8], v5
	s_or_b64 vcc, s[0:1], vcc
	v_addc_co_u32_e32 v5, vcc, 0, v10, vcc
	v_mul_f64 v[7:8], v[7:8], s[2:3]
	v_cmp_gt_i32_e32 vcc, 31, v9
	v_cndmask_b32_e32 v5, v0, v5, vcc
	v_cmp_ne_u32_e32 vcc, 0, v3
	v_cndmask_b32_e64 v3, 0, 1, vcc
	v_lshl_or_b32 v3, v3, 9, v0
	v_cmp_eq_u32_e32 vcc, s10, v9
	v_cndmask_b32_e32 v3, v5, v3, vcc
	v_lshrrev_b32_e32 v4, 16, v4
	v_and_or_b32 v5, v4, s11, v3
	v_and_or_b32 v3, v8, s4, v7
	v_cmp_ne_u32_e32 vcc, 0, v3
	v_cndmask_b32_e64 v3, 0, 1, vcc
	v_lshrrev_b32_e32 v4, 8, v8
	v_bfe_u32 v7, v8, 20, 11
	v_and_or_b32 v3, v4, s5, v3
	v_sub_u32_e32 v9, 0x3f1, v7
	v_or_b32_e32 v4, 0x1000, v3
	v_med3_i32 v9, v9, 0, 13
	v_lshrrev_b32_e32 v10, v9, v4
	v_lshlrev_b32_e32 v9, v9, v10
	v_cmp_ne_u32_e32 vcc, v9, v4
	v_cndmask_b32_e64 v4, 0, 1, vcc
	v_add_u32_e32 v7, 0xfffffc10, v7
	v_or_b32_e32 v4, v10, v4
	v_lshl_or_b32 v9, v7, 12, v3
	v_cmp_gt_i32_e32 vcc, 1, v7
	v_cndmask_b32_e32 v4, v9, v4, vcc
	v_and_b32_e32 v9, 7, v4
	v_cmp_lt_i32_e32 vcc, 5, v9
	v_cmp_eq_u32_e64 s[0:1], 3, v9
	v_lshrrev_b32_e32 v9, 16, v6
	v_lshrrev_b32_e32 v4, 2, v4
	s_or_b64 vcc, s[0:1], vcc
	v_mul_f16_sdwa v10, v39, v9 dst_sel:DWORD dst_unused:UNUSED_PAD src0_sel:WORD_1 src1_sel:DWORD
	v_addc_co_u32_e32 v4, vcc, 0, v4, vcc
	v_fma_f16 v10, v39, v6, v10
	v_cmp_gt_i32_e32 vcc, 31, v7
	v_cvt_f32_f16_e32 v10, v10
	v_cndmask_b32_e32 v4, v0, v4, vcc
	v_cmp_ne_u32_e32 vcc, 0, v3
	v_cndmask_b32_e64 v3, 0, 1, vcc
	v_lshl_or_b32 v3, v3, 9, v0
	v_cmp_eq_u32_e32 vcc, s10, v7
	v_cndmask_b32_e32 v7, v4, v3, vcc
	v_cvt_f64_f32_e32 v[3:4], v10
	v_lshrrev_b32_e32 v8, 16, v8
	v_and_or_b32 v7, v8, s11, v7
	v_and_b32_e32 v5, 0xffff, v5
	v_mul_f64 v[3:4], v[3:4], s[2:3]
	v_lshl_or_b32 v5, v7, 16, v5
	v_mov_b32_e32 v7, s6
	v_add_co_u32_e32 v1, vcc, s7, v1
	v_addc_co_u32_e32 v2, vcc, v2, v7, vcc
	global_store_dword v[1:2], v5, off
	v_and_or_b32 v3, v4, s4, v3
	v_cmp_ne_u32_e32 vcc, 0, v3
	v_cndmask_b32_e64 v3, 0, 1, vcc
	v_lshrrev_b32_e32 v5, 8, v4
	v_bfe_u32 v7, v4, 20, 11
	v_and_or_b32 v3, v5, s5, v3
	v_sub_u32_e32 v8, 0x3f1, v7
	v_or_b32_e32 v5, 0x1000, v3
	v_med3_i32 v8, v8, 0, 13
	v_lshrrev_b32_e32 v10, v8, v5
	v_lshlrev_b32_e32 v8, v8, v10
	v_mul_f16_sdwa v6, v39, v6 dst_sel:DWORD dst_unused:UNUSED_PAD src0_sel:WORD_1 src1_sel:DWORD
	v_cmp_ne_u32_e32 vcc, v8, v5
	v_fma_f16 v6, v39, v9, -v6
	v_cndmask_b32_e64 v5, 0, 1, vcc
	v_add_u32_e32 v7, 0xfffffc10, v7
	v_cvt_f32_f16_e32 v6, v6
	v_or_b32_e32 v5, v10, v5
	v_lshl_or_b32 v8, v7, 12, v3
	v_cmp_gt_i32_e32 vcc, 1, v7
	v_cndmask_b32_e32 v5, v8, v5, vcc
	v_and_b32_e32 v8, 7, v5
	v_cmp_lt_i32_e32 vcc, 5, v8
	v_cmp_eq_u32_e64 s[0:1], 3, v8
	v_lshrrev_b32_e32 v8, 2, v5
	v_cvt_f64_f32_e32 v[5:6], v6
	s_or_b64 vcc, s[0:1], vcc
	v_addc_co_u32_e32 v8, vcc, 0, v8, vcc
	v_mul_f64 v[5:6], v[5:6], s[2:3]
	v_cmp_gt_i32_e32 vcc, 31, v7
	v_cndmask_b32_e32 v8, v0, v8, vcc
	v_cmp_ne_u32_e32 vcc, 0, v3
	v_cndmask_b32_e64 v3, 0, 1, vcc
	v_lshl_or_b32 v3, v3, 9, v0
	v_cmp_eq_u32_e32 vcc, s10, v7
	v_cndmask_b32_e32 v3, v8, v3, vcc
	v_lshrrev_b32_e32 v4, 16, v4
	v_and_or_b32 v7, v4, s11, v3
	v_and_or_b32 v3, v6, s4, v5
	v_cmp_ne_u32_e32 vcc, 0, v3
	v_cndmask_b32_e64 v3, 0, 1, vcc
	v_lshrrev_b32_e32 v4, 8, v6
	v_bfe_u32 v5, v6, 20, 11
	v_and_or_b32 v3, v4, s5, v3
	v_sub_u32_e32 v8, 0x3f1, v5
	v_or_b32_e32 v4, 0x1000, v3
	v_med3_i32 v8, v8, 0, 13
	v_lshrrev_b32_e32 v9, v8, v4
	v_lshlrev_b32_e32 v8, v8, v9
	v_cmp_ne_u32_e32 vcc, v8, v4
	v_cndmask_b32_e64 v4, 0, 1, vcc
	v_add_u32_e32 v5, 0xfffffc10, v5
	v_or_b32_e32 v4, v9, v4
	v_lshl_or_b32 v8, v5, 12, v3
	v_cmp_gt_i32_e32 vcc, 1, v5
	v_cndmask_b32_e32 v4, v8, v4, vcc
	v_and_b32_e32 v8, 7, v4
	v_cmp_lt_i32_e32 vcc, 5, v8
	v_cmp_eq_u32_e64 s[0:1], 3, v8
	ds_read_b32 v8, v37 offset:4352
	v_lshrrev_b32_e32 v4, 2, v4
	s_or_b64 vcc, s[0:1], vcc
	v_addc_co_u32_e32 v4, vcc, 0, v4, vcc
	s_waitcnt lgkmcnt(0)
	v_lshrrev_b32_e32 v9, 16, v8
	v_mul_f16_sdwa v10, v38, v9 dst_sel:DWORD dst_unused:UNUSED_PAD src0_sel:WORD_1 src1_sel:DWORD
	v_fma_f16 v10, v38, v8, v10
	v_cmp_gt_i32_e32 vcc, 31, v5
	v_cvt_f32_f16_e32 v10, v10
	v_cndmask_b32_e32 v4, v0, v4, vcc
	v_cmp_ne_u32_e32 vcc, 0, v3
	v_cndmask_b32_e64 v3, 0, 1, vcc
	v_lshl_or_b32 v3, v3, 9, v0
	v_cmp_eq_u32_e32 vcc, s10, v5
	v_cndmask_b32_e32 v5, v4, v3, vcc
	v_cvt_f64_f32_e32 v[3:4], v10
	v_lshrrev_b32_e32 v6, 16, v6
	v_and_or_b32 v5, v6, s11, v5
	v_and_b32_e32 v6, 0xffff, v7
	v_mul_f64 v[3:4], v[3:4], s[2:3]
	v_lshl_or_b32 v5, v5, 16, v6
	v_mov_b32_e32 v6, s6
	v_add_co_u32_e32 v1, vcc, s7, v1
	v_addc_co_u32_e32 v2, vcc, v2, v6, vcc
	global_store_dword v[1:2], v5, off
	v_and_or_b32 v3, v4, s4, v3
	v_cmp_ne_u32_e32 vcc, 0, v3
	v_cndmask_b32_e64 v3, 0, 1, vcc
	v_lshrrev_b32_e32 v5, 8, v4
	v_bfe_u32 v6, v4, 20, 11
	v_and_or_b32 v3, v5, s5, v3
	v_sub_u32_e32 v7, 0x3f1, v6
	v_or_b32_e32 v5, 0x1000, v3
	v_med3_i32 v7, v7, 0, 13
	v_lshrrev_b32_e32 v10, v7, v5
	v_lshlrev_b32_e32 v7, v7, v10
	v_mul_f16_sdwa v8, v38, v8 dst_sel:DWORD dst_unused:UNUSED_PAD src0_sel:WORD_1 src1_sel:DWORD
	v_cmp_ne_u32_e32 vcc, v7, v5
	v_fma_f16 v8, v38, v9, -v8
	v_cndmask_b32_e64 v5, 0, 1, vcc
	v_add_u32_e32 v7, 0xfffffc10, v6
	v_cvt_f32_f16_e32 v8, v8
	v_or_b32_e32 v5, v10, v5
	v_lshl_or_b32 v6, v7, 12, v3
	v_cmp_gt_i32_e32 vcc, 1, v7
	v_cndmask_b32_e32 v5, v6, v5, vcc
	v_and_b32_e32 v6, 7, v5
	v_cmp_lt_i32_e32 vcc, 5, v6
	v_cmp_eq_u32_e64 s[0:1], 3, v6
	v_lshrrev_b32_e32 v9, 2, v5
	v_cvt_f64_f32_e32 v[5:6], v8
	s_or_b64 vcc, s[0:1], vcc
	v_addc_co_u32_e32 v8, vcc, 0, v9, vcc
	v_mul_f64 v[5:6], v[5:6], s[2:3]
	v_cmp_gt_i32_e32 vcc, 31, v7
	v_cndmask_b32_e32 v8, v0, v8, vcc
	v_cmp_ne_u32_e32 vcc, 0, v3
	v_cndmask_b32_e64 v3, 0, 1, vcc
	v_lshl_or_b32 v3, v3, 9, v0
	v_cmp_eq_u32_e32 vcc, s10, v7
	v_cndmask_b32_e32 v3, v8, v3, vcc
	v_lshrrev_b32_e32 v4, 16, v4
	v_and_or_b32 v3, v4, s11, v3
	v_and_or_b32 v4, v6, s4, v5
	v_cmp_ne_u32_e32 vcc, 0, v4
	v_cndmask_b32_e64 v4, 0, 1, vcc
	v_lshrrev_b32_e32 v5, 8, v6
	v_bfe_u32 v7, v6, 20, 11
	v_and_or_b32 v4, v5, s5, v4
	v_sub_u32_e32 v8, 0x3f1, v7
	v_or_b32_e32 v5, 0x1000, v4
	v_med3_i32 v8, v8, 0, 13
	v_lshrrev_b32_e32 v9, v8, v5
	v_lshlrev_b32_e32 v8, v8, v9
	v_cmp_ne_u32_e32 vcc, v8, v5
	v_cndmask_b32_e64 v5, 0, 1, vcc
	v_add_u32_e32 v7, 0xfffffc10, v7
	v_or_b32_e32 v5, v9, v5
	v_lshl_or_b32 v8, v7, 12, v4
	v_cmp_gt_i32_e32 vcc, 1, v7
	v_cndmask_b32_e32 v5, v8, v5, vcc
	v_and_b32_e32 v8, 7, v5
	v_cmp_lt_i32_e32 vcc, 5, v8
	v_cmp_eq_u32_e64 s[0:1], 3, v8
	v_lshrrev_b32_e32 v5, 2, v5
	s_or_b64 vcc, s[0:1], vcc
	v_addc_co_u32_e32 v5, vcc, 0, v5, vcc
	v_cmp_gt_i32_e32 vcc, 31, v7
	v_cndmask_b32_e32 v5, v0, v5, vcc
	v_cmp_ne_u32_e32 vcc, 0, v4
	v_cndmask_b32_e64 v4, 0, 1, vcc
	v_lshl_or_b32 v0, v4, 9, v0
	v_cmp_eq_u32_e32 vcc, s10, v7
	v_cndmask_b32_e32 v0, v5, v0, vcc
	v_lshrrev_b32_e32 v4, 16, v6
	v_and_or_b32 v0, v4, s11, v0
	v_and_b32_e32 v3, 0xffff, v3
	v_lshl_or_b32 v3, v0, 16, v3
	v_mov_b32_e32 v4, s6
	v_add_co_u32_e32 v0, vcc, s7, v1
	v_addc_co_u32_e32 v1, vcc, v2, v4, vcc
	global_store_dword v[0:1], v3, off
.LBB0_18:
	s_endpgm
	.section	.rodata,"a",@progbits
	.p2align	6, 0x0
	.amdhsa_kernel bluestein_single_back_len1156_dim1_half_op_CI_CI
		.amdhsa_group_segment_fixed_size 13872
		.amdhsa_private_segment_fixed_size 0
		.amdhsa_kernarg_size 104
		.amdhsa_user_sgpr_count 6
		.amdhsa_user_sgpr_private_segment_buffer 1
		.amdhsa_user_sgpr_dispatch_ptr 0
		.amdhsa_user_sgpr_queue_ptr 0
		.amdhsa_user_sgpr_kernarg_segment_ptr 1
		.amdhsa_user_sgpr_dispatch_id 0
		.amdhsa_user_sgpr_flat_scratch_init 0
		.amdhsa_user_sgpr_private_segment_size 0
		.amdhsa_uses_dynamic_stack 0
		.amdhsa_system_sgpr_private_segment_wavefront_offset 0
		.amdhsa_system_sgpr_workgroup_id_x 1
		.amdhsa_system_sgpr_workgroup_id_y 0
		.amdhsa_system_sgpr_workgroup_id_z 0
		.amdhsa_system_sgpr_workgroup_info 0
		.amdhsa_system_vgpr_workitem_id 0
		.amdhsa_next_free_vgpr 135
		.amdhsa_next_free_sgpr 34
		.amdhsa_reserve_vcc 1
		.amdhsa_reserve_flat_scratch 0
		.amdhsa_float_round_mode_32 0
		.amdhsa_float_round_mode_16_64 0
		.amdhsa_float_denorm_mode_32 3
		.amdhsa_float_denorm_mode_16_64 3
		.amdhsa_dx10_clamp 1
		.amdhsa_ieee_mode 1
		.amdhsa_fp16_overflow 0
		.amdhsa_exception_fp_ieee_invalid_op 0
		.amdhsa_exception_fp_denorm_src 0
		.amdhsa_exception_fp_ieee_div_zero 0
		.amdhsa_exception_fp_ieee_overflow 0
		.amdhsa_exception_fp_ieee_underflow 0
		.amdhsa_exception_fp_ieee_inexact 0
		.amdhsa_exception_int_div_zero 0
	.end_amdhsa_kernel
	.text
.Lfunc_end0:
	.size	bluestein_single_back_len1156_dim1_half_op_CI_CI, .Lfunc_end0-bluestein_single_back_len1156_dim1_half_op_CI_CI
                                        ; -- End function
	.section	.AMDGPU.csdata,"",@progbits
; Kernel info:
; codeLenInByte = 36492
; NumSgprs: 38
; NumVgprs: 135
; ScratchSize: 0
; MemoryBound: 0
; FloatMode: 240
; IeeeMode: 1
; LDSByteSize: 13872 bytes/workgroup (compile time only)
; SGPRBlocks: 4
; VGPRBlocks: 33
; NumSGPRsForWavesPerEU: 38
; NumVGPRsForWavesPerEU: 135
; Occupancy: 1
; WaveLimiterHint : 1
; COMPUTE_PGM_RSRC2:SCRATCH_EN: 0
; COMPUTE_PGM_RSRC2:USER_SGPR: 6
; COMPUTE_PGM_RSRC2:TRAP_HANDLER: 0
; COMPUTE_PGM_RSRC2:TGID_X_EN: 1
; COMPUTE_PGM_RSRC2:TGID_Y_EN: 0
; COMPUTE_PGM_RSRC2:TGID_Z_EN: 0
; COMPUTE_PGM_RSRC2:TIDIG_COMP_CNT: 0
	.type	__hip_cuid_286b0ed0e2d10e4,@object ; @__hip_cuid_286b0ed0e2d10e4
	.section	.bss,"aw",@nobits
	.globl	__hip_cuid_286b0ed0e2d10e4
__hip_cuid_286b0ed0e2d10e4:
	.byte	0                               ; 0x0
	.size	__hip_cuid_286b0ed0e2d10e4, 1

	.ident	"AMD clang version 19.0.0git (https://github.com/RadeonOpenCompute/llvm-project roc-6.4.0 25133 c7fe45cf4b819c5991fe208aaa96edf142730f1d)"
	.section	".note.GNU-stack","",@progbits
	.addrsig
	.addrsig_sym __hip_cuid_286b0ed0e2d10e4
	.amdgpu_metadata
---
amdhsa.kernels:
  - .args:
      - .actual_access:  read_only
        .address_space:  global
        .offset:         0
        .size:           8
        .value_kind:     global_buffer
      - .actual_access:  read_only
        .address_space:  global
        .offset:         8
        .size:           8
        .value_kind:     global_buffer
      - .actual_access:  read_only
        .address_space:  global
        .offset:         16
        .size:           8
        .value_kind:     global_buffer
      - .actual_access:  read_only
        .address_space:  global
        .offset:         24
        .size:           8
        .value_kind:     global_buffer
      - .actual_access:  read_only
        .address_space:  global
        .offset:         32
        .size:           8
        .value_kind:     global_buffer
      - .offset:         40
        .size:           8
        .value_kind:     by_value
      - .address_space:  global
        .offset:         48
        .size:           8
        .value_kind:     global_buffer
      - .address_space:  global
        .offset:         56
        .size:           8
        .value_kind:     global_buffer
      - .address_space:  global
        .offset:         64
        .size:           8
        .value_kind:     global_buffer
      - .address_space:  global
        .offset:         72
        .size:           8
        .value_kind:     global_buffer
      - .offset:         80
        .size:           4
        .value_kind:     by_value
      - .address_space:  global
        .offset:         88
        .size:           8
        .value_kind:     global_buffer
      - .address_space:  global
        .offset:         96
        .size:           8
        .value_kind:     global_buffer
    .group_segment_fixed_size: 13872
    .kernarg_segment_align: 8
    .kernarg_segment_size: 104
    .language:       OpenCL C
    .language_version:
      - 2
      - 0
    .max_flat_workgroup_size: 204
    .name:           bluestein_single_back_len1156_dim1_half_op_CI_CI
    .private_segment_fixed_size: 0
    .sgpr_count:     38
    .sgpr_spill_count: 0
    .symbol:         bluestein_single_back_len1156_dim1_half_op_CI_CI.kd
    .uniform_work_group_size: 1
    .uses_dynamic_stack: false
    .vgpr_count:     135
    .vgpr_spill_count: 0
    .wavefront_size: 64
amdhsa.target:   amdgcn-amd-amdhsa--gfx906
amdhsa.version:
  - 1
  - 2
...

	.end_amdgpu_metadata
